;; amdgpu-corpus repo=ROCm/rocFFT kind=compiled arch=gfx1030 opt=O3
	.text
	.amdgcn_target "amdgcn-amd-amdhsa--gfx1030"
	.amdhsa_code_object_version 6
	.protected	fft_rtc_back_len2560_factors_4_4_4_10_4_wgs_128_tpt_128_halfLds_dp_op_CI_CI_unitstride_sbrr_C2R_dirReg ; -- Begin function fft_rtc_back_len2560_factors_4_4_4_10_4_wgs_128_tpt_128_halfLds_dp_op_CI_CI_unitstride_sbrr_C2R_dirReg
	.globl	fft_rtc_back_len2560_factors_4_4_4_10_4_wgs_128_tpt_128_halfLds_dp_op_CI_CI_unitstride_sbrr_C2R_dirReg
	.p2align	8
	.type	fft_rtc_back_len2560_factors_4_4_4_10_4_wgs_128_tpt_128_halfLds_dp_op_CI_CI_unitstride_sbrr_C2R_dirReg,@function
fft_rtc_back_len2560_factors_4_4_4_10_4_wgs_128_tpt_128_halfLds_dp_op_CI_CI_unitstride_sbrr_C2R_dirReg: ; @fft_rtc_back_len2560_factors_4_4_4_10_4_wgs_128_tpt_128_halfLds_dp_op_CI_CI_unitstride_sbrr_C2R_dirReg
; %bb.0:
	s_clause 0x2
	s_load_dwordx4 s[12:15], s[4:5], 0x0
	s_load_dwordx4 s[8:11], s[4:5], 0x58
	;; [unrolled: 1-line block ×3, first 2 shown]
	v_mov_b32_e32 v3, 0
	v_mov_b32_e32 v1, 0
	v_mov_b32_e32 v5, s6
	v_mov_b32_e32 v2, 0
	v_mov_b32_e32 v6, v3
	s_waitcnt lgkmcnt(0)
	v_cmp_lt_u64_e64 s0, s[14:15], 2
	s_and_b32 vcc_lo, exec_lo, s0
	s_cbranch_vccnz .LBB0_8
; %bb.1:
	s_load_dwordx2 s[0:1], s[4:5], 0x10
	v_mov_b32_e32 v1, 0
	v_mov_b32_e32 v2, 0
	s_add_u32 s2, s18, 8
	s_addc_u32 s3, s19, 0
	s_add_u32 s6, s16, 8
	s_addc_u32 s7, s17, 0
	v_mov_b32_e32 v42, v2
	v_mov_b32_e32 v41, v1
	s_mov_b64 s[22:23], 1
	s_waitcnt lgkmcnt(0)
	s_add_u32 s20, s0, 8
	s_addc_u32 s21, s1, 0
.LBB0_2:                                ; =>This Inner Loop Header: Depth=1
	s_load_dwordx2 s[24:25], s[20:21], 0x0
                                        ; implicit-def: $vgpr43_vgpr44
	s_mov_b32 s0, exec_lo
	s_waitcnt lgkmcnt(0)
	v_or_b32_e32 v4, s25, v6
	v_cmpx_ne_u64_e32 0, v[3:4]
	s_xor_b32 s1, exec_lo, s0
	s_cbranch_execz .LBB0_4
; %bb.3:                                ;   in Loop: Header=BB0_2 Depth=1
	v_cvt_f32_u32_e32 v4, s24
	v_cvt_f32_u32_e32 v7, s25
	s_sub_u32 s0, 0, s24
	s_subb_u32 s26, 0, s25
	v_fmac_f32_e32 v4, 0x4f800000, v7
	v_rcp_f32_e32 v4, v4
	v_mul_f32_e32 v4, 0x5f7ffffc, v4
	v_mul_f32_e32 v7, 0x2f800000, v4
	v_trunc_f32_e32 v7, v7
	v_fmac_f32_e32 v4, 0xcf800000, v7
	v_cvt_u32_f32_e32 v7, v7
	v_cvt_u32_f32_e32 v4, v4
	v_mul_lo_u32 v8, s0, v7
	v_mul_hi_u32 v9, s0, v4
	v_mul_lo_u32 v10, s26, v4
	v_add_nc_u32_e32 v8, v9, v8
	v_mul_lo_u32 v9, s0, v4
	v_add_nc_u32_e32 v8, v8, v10
	v_mul_hi_u32 v10, v4, v9
	v_mul_lo_u32 v11, v4, v8
	v_mul_hi_u32 v12, v4, v8
	v_mul_hi_u32 v13, v7, v9
	v_mul_lo_u32 v9, v7, v9
	v_mul_hi_u32 v14, v7, v8
	v_mul_lo_u32 v8, v7, v8
	v_add_co_u32 v10, vcc_lo, v10, v11
	v_add_co_ci_u32_e32 v11, vcc_lo, 0, v12, vcc_lo
	v_add_co_u32 v9, vcc_lo, v10, v9
	v_add_co_ci_u32_e32 v9, vcc_lo, v11, v13, vcc_lo
	v_add_co_ci_u32_e32 v10, vcc_lo, 0, v14, vcc_lo
	v_add_co_u32 v8, vcc_lo, v9, v8
	v_add_co_ci_u32_e32 v9, vcc_lo, 0, v10, vcc_lo
	v_add_co_u32 v4, vcc_lo, v4, v8
	v_add_co_ci_u32_e32 v7, vcc_lo, v7, v9, vcc_lo
	v_mul_hi_u32 v8, s0, v4
	v_mul_lo_u32 v10, s26, v4
	v_mul_lo_u32 v9, s0, v7
	v_add_nc_u32_e32 v8, v8, v9
	v_mul_lo_u32 v9, s0, v4
	v_add_nc_u32_e32 v8, v8, v10
	v_mul_hi_u32 v10, v4, v9
	v_mul_lo_u32 v11, v4, v8
	v_mul_hi_u32 v12, v4, v8
	v_mul_hi_u32 v13, v7, v9
	v_mul_lo_u32 v9, v7, v9
	v_mul_hi_u32 v14, v7, v8
	v_mul_lo_u32 v8, v7, v8
	v_add_co_u32 v10, vcc_lo, v10, v11
	v_add_co_ci_u32_e32 v11, vcc_lo, 0, v12, vcc_lo
	v_add_co_u32 v9, vcc_lo, v10, v9
	v_add_co_ci_u32_e32 v9, vcc_lo, v11, v13, vcc_lo
	v_add_co_ci_u32_e32 v10, vcc_lo, 0, v14, vcc_lo
	v_add_co_u32 v8, vcc_lo, v9, v8
	v_add_co_ci_u32_e32 v9, vcc_lo, 0, v10, vcc_lo
	v_add_co_u32 v4, vcc_lo, v4, v8
	v_add_co_ci_u32_e32 v11, vcc_lo, v7, v9, vcc_lo
	v_mul_hi_u32 v13, v5, v4
	v_mad_u64_u32 v[9:10], null, v6, v4, 0
	v_mad_u64_u32 v[7:8], null, v5, v11, 0
	;; [unrolled: 1-line block ×3, first 2 shown]
	v_add_co_u32 v4, vcc_lo, v13, v7
	v_add_co_ci_u32_e32 v7, vcc_lo, 0, v8, vcc_lo
	v_add_co_u32 v4, vcc_lo, v4, v9
	v_add_co_ci_u32_e32 v4, vcc_lo, v7, v10, vcc_lo
	v_add_co_ci_u32_e32 v7, vcc_lo, 0, v12, vcc_lo
	v_add_co_u32 v4, vcc_lo, v4, v11
	v_add_co_ci_u32_e32 v9, vcc_lo, 0, v7, vcc_lo
	v_mul_lo_u32 v10, s25, v4
	v_mad_u64_u32 v[7:8], null, s24, v4, 0
	v_mul_lo_u32 v11, s24, v9
	v_sub_co_u32 v7, vcc_lo, v5, v7
	v_add3_u32 v8, v8, v11, v10
	v_sub_nc_u32_e32 v10, v6, v8
	v_subrev_co_ci_u32_e64 v10, s0, s25, v10, vcc_lo
	v_add_co_u32 v11, s0, v4, 2
	v_add_co_ci_u32_e64 v12, s0, 0, v9, s0
	v_sub_co_u32 v13, s0, v7, s24
	v_sub_co_ci_u32_e32 v8, vcc_lo, v6, v8, vcc_lo
	v_subrev_co_ci_u32_e64 v10, s0, 0, v10, s0
	v_cmp_le_u32_e32 vcc_lo, s24, v13
	v_cmp_eq_u32_e64 s0, s25, v8
	v_cndmask_b32_e64 v13, 0, -1, vcc_lo
	v_cmp_le_u32_e32 vcc_lo, s25, v10
	v_cndmask_b32_e64 v14, 0, -1, vcc_lo
	v_cmp_le_u32_e32 vcc_lo, s24, v7
	;; [unrolled: 2-line block ×3, first 2 shown]
	v_cndmask_b32_e64 v15, 0, -1, vcc_lo
	v_cmp_eq_u32_e32 vcc_lo, s25, v10
	v_cndmask_b32_e64 v7, v15, v7, s0
	v_cndmask_b32_e32 v10, v14, v13, vcc_lo
	v_add_co_u32 v13, vcc_lo, v4, 1
	v_add_co_ci_u32_e32 v14, vcc_lo, 0, v9, vcc_lo
	v_cmp_ne_u32_e32 vcc_lo, 0, v10
	v_cndmask_b32_e32 v8, v14, v12, vcc_lo
	v_cndmask_b32_e32 v10, v13, v11, vcc_lo
	v_cmp_ne_u32_e32 vcc_lo, 0, v7
	v_cndmask_b32_e32 v44, v9, v8, vcc_lo
	v_cndmask_b32_e32 v43, v4, v10, vcc_lo
.LBB0_4:                                ;   in Loop: Header=BB0_2 Depth=1
	s_andn2_saveexec_b32 s0, s1
	s_cbranch_execz .LBB0_6
; %bb.5:                                ;   in Loop: Header=BB0_2 Depth=1
	v_cvt_f32_u32_e32 v4, s24
	s_sub_i32 s1, 0, s24
	v_mov_b32_e32 v44, v3
	v_rcp_iflag_f32_e32 v4, v4
	v_mul_f32_e32 v4, 0x4f7ffffe, v4
	v_cvt_u32_f32_e32 v4, v4
	v_mul_lo_u32 v7, s1, v4
	v_mul_hi_u32 v7, v4, v7
	v_add_nc_u32_e32 v4, v4, v7
	v_mul_hi_u32 v4, v5, v4
	v_mul_lo_u32 v7, v4, s24
	v_add_nc_u32_e32 v8, 1, v4
	v_sub_nc_u32_e32 v7, v5, v7
	v_subrev_nc_u32_e32 v9, s24, v7
	v_cmp_le_u32_e32 vcc_lo, s24, v7
	v_cndmask_b32_e32 v7, v7, v9, vcc_lo
	v_cndmask_b32_e32 v4, v4, v8, vcc_lo
	v_cmp_le_u32_e32 vcc_lo, s24, v7
	v_add_nc_u32_e32 v8, 1, v4
	v_cndmask_b32_e32 v43, v4, v8, vcc_lo
.LBB0_6:                                ;   in Loop: Header=BB0_2 Depth=1
	s_or_b32 exec_lo, exec_lo, s0
	v_mul_lo_u32 v4, v44, s24
	v_mul_lo_u32 v9, v43, s25
	s_load_dwordx2 s[0:1], s[6:7], 0x0
	v_mad_u64_u32 v[7:8], null, v43, s24, 0
	s_load_dwordx2 s[24:25], s[2:3], 0x0
	s_add_u32 s22, s22, 1
	s_addc_u32 s23, s23, 0
	s_add_u32 s2, s2, 8
	s_addc_u32 s3, s3, 0
	s_add_u32 s6, s6, 8
	v_add3_u32 v4, v8, v9, v4
	v_sub_co_u32 v5, vcc_lo, v5, v7
	s_addc_u32 s7, s7, 0
	s_add_u32 s20, s20, 8
	v_sub_co_ci_u32_e32 v4, vcc_lo, v6, v4, vcc_lo
	s_addc_u32 s21, s21, 0
	s_waitcnt lgkmcnt(0)
	v_mul_lo_u32 v6, s0, v4
	v_mul_lo_u32 v7, s1, v5
	v_mad_u64_u32 v[1:2], null, s0, v5, v[1:2]
	v_mul_lo_u32 v4, s24, v4
	v_mul_lo_u32 v8, s25, v5
	v_mad_u64_u32 v[41:42], null, s24, v5, v[41:42]
	v_cmp_ge_u64_e64 s0, s[22:23], s[14:15]
	v_add3_u32 v2, v7, v2, v6
	v_add3_u32 v42, v8, v42, v4
	s_and_b32 vcc_lo, exec_lo, s0
	s_cbranch_vccnz .LBB0_9
; %bb.7:                                ;   in Loop: Header=BB0_2 Depth=1
	v_mov_b32_e32 v5, v43
	v_mov_b32_e32 v6, v44
	s_branch .LBB0_2
.LBB0_8:
	v_mov_b32_e32 v42, v2
	v_mov_b32_e32 v44, v6
	;; [unrolled: 1-line block ×4, first 2 shown]
.LBB0_9:
	s_load_dwordx2 s[0:1], s[4:5], 0x28
	s_lshl_b64 s[4:5], s[14:15], 3
                                        ; implicit-def: $vgpr45
	s_add_u32 s2, s18, s4
	s_addc_u32 s3, s19, s5
	s_waitcnt lgkmcnt(0)
	v_cmp_gt_u64_e32 vcc_lo, s[0:1], v[43:44]
	v_cmp_le_u64_e64 s0, s[0:1], v[43:44]
	s_and_saveexec_b32 s1, s0
	s_xor_b32 s0, exec_lo, s1
; %bb.10:
	v_mov_b32_e32 v45, v0
                                        ; implicit-def: $vgpr1_vgpr2
; %bb.11:
	s_or_saveexec_b32 s1, s0
	s_load_dwordx2 s[2:3], s[2:3], 0x0
	s_xor_b32 exec_lo, exec_lo, s1
	s_cbranch_execz .LBB0_15
; %bb.12:
	s_add_u32 s4, s16, s4
	s_addc_u32 s5, s17, s5
	v_lshlrev_b64 v[1:2], 4, v[1:2]
	s_load_dwordx2 s[4:5], s[4:5], 0x0
	v_lshlrev_b32_e32 v45, 4, v0
	v_or_b32_e32 v9, 0x1800, v45
	v_or_b32_e32 v10, 0x2000, v45
	;; [unrolled: 1-line block ×14, first 2 shown]
	s_waitcnt lgkmcnt(0)
	v_mul_lo_u32 v5, s5, v43
	v_mul_lo_u32 v6, s4, v44
	v_mad_u64_u32 v[3:4], null, s4, v43, 0
	v_or_b32_e32 v48, 0x8800, v45
	v_or_b32_e32 v49, 0x9000, v45
	;; [unrolled: 1-line block ×3, first 2 shown]
	v_add3_u32 v4, v4, v6, v5
	v_or_b32_e32 v5, 0x800, v45
	v_or_b32_e32 v6, 0x1000, v45
	v_lshlrev_b64 v[3:4], 4, v[3:4]
	v_add_co_u32 v3, s0, s8, v3
	v_add_co_ci_u32_e64 v4, s0, s9, v4, s0
	v_add_co_u32 v1, s0, v3, v1
	v_add_co_ci_u32_e64 v2, s0, v4, v2, s0
	;; [unrolled: 2-line block ×22, first 2 shown]
	s_clause 0x13
	global_load_dwordx4 v[3:6], v[3:4], off
	global_load_dwordx4 v[7:10], v[7:8], off
	;; [unrolled: 1-line block ×20, first 2 shown]
	v_add_nc_u32_e32 v39, 0, v45
	v_cmp_eq_u32_e64 s0, 0x7f, v0
	v_mov_b32_e32 v45, v0
	v_add_nc_u32_e32 v40, 0, v90
	v_add_nc_u32_e32 v90, 0, v91
	s_waitcnt vmcnt(19)
	ds_write_b128 v39, v[3:6]
	s_waitcnt vmcnt(18)
	ds_write_b128 v39, v[7:10] offset:2048
	s_waitcnt vmcnt(17)
	ds_write_b128 v39, v[11:14] offset:4096
	;; [unrolled: 2-line block ×6, first 2 shown]
	s_waitcnt vmcnt(12)
	ds_write_b128 v40, v[31:34]
	s_waitcnt vmcnt(11)
	ds_write_b128 v39, v[35:38] offset:16384
	s_waitcnt vmcnt(10)
	ds_write_b128 v39, v[46:49] offset:18432
	;; [unrolled: 2-line block ×7, first 2 shown]
	s_waitcnt vmcnt(4)
	ds_write_b128 v90, v[70:73]
	s_waitcnt vmcnt(3)
	ds_write_b128 v39, v[74:77] offset:32768
	s_waitcnt vmcnt(2)
	ds_write_b128 v39, v[78:81] offset:34816
	;; [unrolled: 2-line block ×4, first 2 shown]
	s_and_saveexec_b32 s4, s0
	s_cbranch_execz .LBB0_14
; %bb.13:
	v_add_co_u32 v1, s0, 0xa000, v1
	v_add_co_ci_u32_e64 v2, s0, 0, v2, s0
	v_mov_b32_e32 v5, 0
	v_mov_b32_e32 v45, 0x7f
	global_load_dwordx4 v[1:4], v[1:2], off
	s_waitcnt vmcnt(0)
	ds_write_b128 v5, v[1:4] offset:40960
.LBB0_14:
	s_or_b32 exec_lo, exec_lo, s4
.LBB0_15:
	s_or_b32 exec_lo, exec_lo, s1
	v_lshlrev_b32_e32 v1, 4, v45
	s_waitcnt lgkmcnt(0)
	s_barrier
	buffer_gl0_inv
	s_add_u32 s4, s12, 0x9fc0
	v_add_nc_u32_e32 v139, 0, v1
	v_sub_nc_u32_e32 v9, 0, v1
	s_addc_u32 s5, s13, 0
	s_mov_b32 s1, exec_lo
	ds_read_b64 v[5:6], v139
	ds_read_b64 v[7:8], v9 offset:40960
	s_waitcnt lgkmcnt(0)
	v_add_f64 v[1:2], v[5:6], v[7:8]
	v_add_f64 v[3:4], v[5:6], -v[7:8]
	v_cmpx_ne_u32_e32 0, v45
	s_xor_b32 s1, exec_lo, s1
	s_cbranch_execz .LBB0_17
; %bb.16:
	v_mov_b32_e32 v46, 0
	v_add_f64 v[14:15], v[5:6], v[7:8]
	v_add_f64 v[16:17], v[5:6], -v[7:8]
	v_lshlrev_b64 v[1:2], 4, v[45:46]
	v_add_co_u32 v1, s0, s4, v1
	v_add_co_ci_u32_e64 v2, s0, s5, v2, s0
	global_load_dwordx4 v[10:13], v[1:2], off
	ds_read_b64 v[1:2], v9 offset:40968
	ds_read_b64 v[3:4], v139 offset:8
	s_waitcnt lgkmcnt(0)
	v_add_f64 v[5:6], v[1:2], v[3:4]
	v_add_f64 v[1:2], v[3:4], -v[1:2]
	s_waitcnt vmcnt(0)
	v_fma_f64 v[3:4], v[16:17], v[12:13], v[14:15]
	v_fma_f64 v[7:8], -v[16:17], v[12:13], v[14:15]
	v_fma_f64 v[14:15], v[5:6], v[12:13], -v[1:2]
	v_fma_f64 v[12:13], v[5:6], v[12:13], v[1:2]
	v_fma_f64 v[1:2], -v[5:6], v[10:11], v[3:4]
	v_fma_f64 v[5:6], v[5:6], v[10:11], v[7:8]
	v_fma_f64 v[7:8], v[16:17], v[10:11], v[14:15]
	;; [unrolled: 1-line block ×3, first 2 shown]
	ds_write_b128 v9, v[5:8] offset:40960
.LBB0_17:
	s_andn2_saveexec_b32 s0, s1
	s_cbranch_execz .LBB0_19
; %bb.18:
	v_mov_b32_e32 v10, 0
	ds_read_b128 v[5:8], v10 offset:20480
	s_waitcnt lgkmcnt(0)
	v_add_f64 v[5:6], v[5:6], v[5:6]
	v_mul_f64 v[7:8], v[7:8], -2.0
	ds_write_b128 v10, v[5:8] offset:20480
.LBB0_19:
	s_or_b32 exec_lo, exec_lo, s0
	v_or_b32_e32 v47, 0x80, v45
	v_mov_b32_e32 v48, 0
	v_or_b32_e32 v49, 0x100, v45
	ds_write_b128 v139, v[1:4]
	v_lshl_or_b32 v32, v0, 4, 0x3800
	v_and_b32_e32 v46, 3, v0
	v_lshlrev_b64 v[5:6], 4, v[47:48]
	v_mov_b32_e32 v50, v48
	v_mov_b32_e32 v51, v48
	;; [unrolled: 1-line block ×3, first 2 shown]
	v_mul_u32_u24_e32 v117, 3, v46
	v_mad_u32_u24 v114, v45, 48, v139
	v_add_co_u32 v5, s0, s4, v5
	v_add_co_ci_u32_e64 v6, s0, s5, v6, s0
	v_lshlrev_b64 v[10:11], 4, v[49:50]
	v_or_b32_e32 v50, 0x180, v45
	v_lshl_add_u32 v115, v47, 6, 0
	global_load_dwordx4 v[5:8], v[5:6], off
	v_lshl_add_u32 v116, v49, 6, 0
	s_mov_b32 s22, 0x134454ff
	v_add_co_u32 v10, s0, s4, v10
	v_add_co_ci_u32_e64 v11, s0, s5, v11, s0
	v_lshlrev_b64 v[14:15], 4, v[50:51]
	v_or_b32_e32 v51, 0x200, v45
	s_mov_b32 s23, 0xbfee6f0e
	global_load_dwordx4 v[10:13], v[10:11], off
	s_mov_b32 s7, 0x3fee6f0e
	s_mov_b32 s6, s22
	v_add_co_u32 v14, s0, s4, v14
	v_add_co_ci_u32_e64 v15, s0, s5, v15, s0
	v_lshlrev_b64 v[18:19], 4, v[51:52]
	s_mov_b32 s20, 0x4755a5e
	s_mov_b32 s21, 0xbfe2cf23
	global_load_dwordx4 v[14:17], v[14:15], off
	s_mov_b32 s8, 0x372fe950
	s_mov_b32 s9, 0x3fd3c6ef
	v_add_co_u32 v22, s0, s4, v18
	v_add_co_ci_u32_e64 v23, s0, s5, v19, s0
	ds_read_b128 v[1:4], v139 offset:2048
	ds_read_b128 v[18:21], v9 offset:38912
	s_mov_b32 s18, 0x9b97f4a8
	s_mov_b32 s19, 0x3fe9e377
	global_load_dwordx4 v[22:25], v[22:23], off
	s_mov_b32 s17, 0xbfd3c6ef
	s_mov_b32 s16, s8
	;; [unrolled: 1-line block ×4, first 2 shown]
	s_waitcnt lgkmcnt(0)
	v_add_f64 v[26:27], v[1:2], v[18:19]
	v_add_f64 v[28:29], v[20:21], v[3:4]
	v_add_f64 v[30:31], v[1:2], -v[18:19]
	v_add_f64 v[1:2], v[3:4], -v[20:21]
	s_waitcnt vmcnt(3)
	v_fma_f64 v[3:4], v[30:31], v[7:8], v[26:27]
	v_fma_f64 v[18:19], v[28:29], v[7:8], v[1:2]
	v_fma_f64 v[20:21], -v[30:31], v[7:8], v[26:27]
	v_fma_f64 v[7:8], v[28:29], v[7:8], -v[1:2]
	v_fma_f64 v[1:2], -v[28:29], v[5:6], v[3:4]
	v_fma_f64 v[3:4], v[30:31], v[5:6], v[18:19]
	v_fma_f64 v[18:19], v[28:29], v[5:6], v[20:21]
	;; [unrolled: 1-line block ×3, first 2 shown]
	v_or_b32_e32 v5, 0x280, v45
	v_mov_b32_e32 v6, v48
	ds_write_b128 v139, v[1:4] offset:2048
	ds_write_b128 v9, v[18:21] offset:38912
	v_lshlrev_b64 v[5:6], 4, v[5:6]
	v_add_co_u32 v26, s0, s4, v5
	v_add_co_ci_u32_e64 v27, s0, s5, v6, s0
	ds_read_b128 v[1:4], v139 offset:4096
	ds_read_b128 v[5:8], v9 offset:36864
	global_load_dwordx4 v[18:21], v[26:27], off
	s_waitcnt lgkmcnt(0)
	v_add_f64 v[26:27], v[1:2], v[5:6]
	v_add_f64 v[28:29], v[7:8], v[3:4]
	v_add_f64 v[30:31], v[1:2], -v[5:6]
	v_add_f64 v[1:2], v[3:4], -v[7:8]
	s_waitcnt vmcnt(3)
	v_fma_f64 v[3:4], v[30:31], v[12:13], v[26:27]
	v_fma_f64 v[5:6], v[28:29], v[12:13], v[1:2]
	v_fma_f64 v[7:8], -v[30:31], v[12:13], v[26:27]
	v_fma_f64 v[12:13], v[28:29], v[12:13], -v[1:2]
	v_fma_f64 v[1:2], -v[28:29], v[10:11], v[3:4]
	v_fma_f64 v[3:4], v[30:31], v[10:11], v[5:6]
	v_fma_f64 v[5:6], v[28:29], v[10:11], v[7:8]
	;; [unrolled: 1-line block ×3, first 2 shown]
	v_or_b32_e32 v10, 0x300, v45
	v_mov_b32_e32 v11, v48
	ds_write_b128 v139, v[1:4] offset:4096
	ds_write_b128 v9, v[5:8] offset:36864
	v_lshlrev_b64 v[10:11], 4, v[10:11]
	ds_read_b128 v[1:4], v139 offset:6144
	ds_read_b128 v[5:8], v9 offset:34816
	v_add_co_u32 v10, s0, s4, v10
	v_add_co_ci_u32_e64 v11, s0, s5, v11, s0
	global_load_dwordx4 v[10:13], v[10:11], off
	s_waitcnt lgkmcnt(0)
	v_add_f64 v[26:27], v[1:2], v[5:6]
	v_add_f64 v[28:29], v[7:8], v[3:4]
	v_add_f64 v[30:31], v[1:2], -v[5:6]
	v_add_f64 v[1:2], v[3:4], -v[7:8]
	s_waitcnt vmcnt(3)
	v_fma_f64 v[3:4], v[30:31], v[16:17], v[26:27]
	v_fma_f64 v[5:6], v[28:29], v[16:17], v[1:2]
	v_fma_f64 v[7:8], -v[30:31], v[16:17], v[26:27]
	v_fma_f64 v[16:17], v[28:29], v[16:17], -v[1:2]
	v_fma_f64 v[1:2], -v[28:29], v[14:15], v[3:4]
	v_fma_f64 v[3:4], v[30:31], v[14:15], v[5:6]
	v_fma_f64 v[5:6], v[28:29], v[14:15], v[7:8]
	;; [unrolled: 1-line block ×3, first 2 shown]
	ds_write_b128 v139, v[1:4] offset:6144
	ds_write_b128 v9, v[5:8] offset:34816
	ds_read_b128 v[1:4], v139 offset:8192
	ds_read_b128 v[5:8], v9 offset:32768
	global_load_dwordx4 v[14:17], v32, s[4:5]
	s_waitcnt lgkmcnt(0)
	v_add_f64 v[26:27], v[1:2], v[5:6]
	v_add_f64 v[28:29], v[7:8], v[3:4]
	v_add_f64 v[30:31], v[1:2], -v[5:6]
	v_add_f64 v[1:2], v[3:4], -v[7:8]
	s_waitcnt vmcnt(3)
	v_fma_f64 v[3:4], v[30:31], v[24:25], v[26:27]
	v_fma_f64 v[5:6], v[28:29], v[24:25], v[1:2]
	v_fma_f64 v[7:8], -v[30:31], v[24:25], v[26:27]
	v_fma_f64 v[24:25], v[28:29], v[24:25], -v[1:2]
	v_fma_f64 v[1:2], -v[28:29], v[22:23], v[3:4]
	v_fma_f64 v[3:4], v[30:31], v[22:23], v[5:6]
	v_fma_f64 v[5:6], v[28:29], v[22:23], v[7:8]
	;; [unrolled: 1-line block ×3, first 2 shown]
	v_or_b32_e32 v22, 0x400, v45
	v_mov_b32_e32 v23, v48
	ds_write_b128 v139, v[1:4] offset:8192
	ds_write_b128 v9, v[5:8] offset:32768
	v_lshlrev_b64 v[22:23], 4, v[22:23]
	ds_read_b128 v[1:4], v139 offset:10240
	ds_read_b128 v[5:8], v9 offset:30720
	v_add_co_u32 v22, s0, s4, v22
	v_add_co_ci_u32_e64 v23, s0, s5, v23, s0
	global_load_dwordx4 v[22:25], v[22:23], off
	s_waitcnt lgkmcnt(0)
	v_add_f64 v[26:27], v[1:2], v[5:6]
	v_add_f64 v[28:29], v[7:8], v[3:4]
	v_add_f64 v[30:31], v[1:2], -v[5:6]
	v_add_f64 v[1:2], v[3:4], -v[7:8]
	s_waitcnt vmcnt(3)
	v_fma_f64 v[3:4], v[30:31], v[20:21], v[26:27]
	v_fma_f64 v[5:6], v[28:29], v[20:21], v[1:2]
	v_fma_f64 v[7:8], -v[30:31], v[20:21], v[26:27]
	v_fma_f64 v[20:21], v[28:29], v[20:21], -v[1:2]
	v_fma_f64 v[1:2], -v[28:29], v[18:19], v[3:4]
	v_fma_f64 v[3:4], v[30:31], v[18:19], v[5:6]
	v_fma_f64 v[5:6], v[28:29], v[18:19], v[7:8]
	;; [unrolled: 1-line block ×3, first 2 shown]
	v_or_b32_e32 v18, 0x480, v45
	v_mov_b32_e32 v19, v48
	ds_write_b128 v139, v[1:4] offset:10240
	ds_write_b128 v9, v[5:8] offset:30720
	v_lshlrev_b64 v[18:19], 4, v[18:19]
	ds_read_b128 v[1:4], v139 offset:12288
	ds_read_b128 v[5:8], v9 offset:28672
	v_add_co_u32 v18, s0, s4, v18
	v_add_co_ci_u32_e64 v19, s0, s5, v19, s0
	s_mov_b32 s5, 0x3fe2cf23
	s_mov_b32 s4, s20
	global_load_dwordx4 v[18:21], v[18:19], off
	s_waitcnt lgkmcnt(0)
	v_add_f64 v[26:27], v[1:2], v[5:6]
	v_add_f64 v[28:29], v[7:8], v[3:4]
	v_add_f64 v[30:31], v[1:2], -v[5:6]
	v_add_f64 v[1:2], v[3:4], -v[7:8]
	s_waitcnt vmcnt(3)
	v_fma_f64 v[3:4], v[30:31], v[12:13], v[26:27]
	v_fma_f64 v[5:6], v[28:29], v[12:13], v[1:2]
	v_fma_f64 v[7:8], -v[30:31], v[12:13], v[26:27]
	v_fma_f64 v[12:13], v[28:29], v[12:13], -v[1:2]
	v_fma_f64 v[1:2], -v[28:29], v[10:11], v[3:4]
	v_fma_f64 v[3:4], v[30:31], v[10:11], v[5:6]
	v_fma_f64 v[5:6], v[28:29], v[10:11], v[7:8]
	;; [unrolled: 1-line block ×3, first 2 shown]
	v_add_nc_u32_e32 v28, 0, v32
	ds_write_b128 v139, v[1:4] offset:12288
	ds_write_b128 v9, v[5:8] offset:28672
	ds_read_b128 v[1:4], v28
	ds_read_b128 v[5:8], v9 offset:26624
	s_waitcnt lgkmcnt(0)
	v_add_f64 v[10:11], v[1:2], v[5:6]
	v_add_f64 v[12:13], v[7:8], v[3:4]
	v_add_f64 v[26:27], v[1:2], -v[5:6]
	v_add_f64 v[1:2], v[3:4], -v[7:8]
	s_waitcnt vmcnt(2)
	v_fma_f64 v[3:4], v[26:27], v[16:17], v[10:11]
	v_fma_f64 v[5:6], v[12:13], v[16:17], v[1:2]
	v_fma_f64 v[7:8], -v[26:27], v[16:17], v[10:11]
	v_fma_f64 v[10:11], v[12:13], v[16:17], -v[1:2]
	v_fma_f64 v[1:2], -v[12:13], v[14:15], v[3:4]
	v_fma_f64 v[3:4], v[26:27], v[14:15], v[5:6]
	v_fma_f64 v[5:6], v[12:13], v[14:15], v[7:8]
	;; [unrolled: 1-line block ×3, first 2 shown]
	ds_write_b128 v28, v[1:4]
	ds_write_b128 v9, v[5:8] offset:26624
	ds_read_b128 v[1:4], v139 offset:16384
	ds_read_b128 v[5:8], v9 offset:24576
	s_waitcnt lgkmcnt(0)
	v_add_f64 v[10:11], v[1:2], v[5:6]
	v_add_f64 v[12:13], v[7:8], v[3:4]
	v_add_f64 v[14:15], v[1:2], -v[5:6]
	v_add_f64 v[1:2], v[3:4], -v[7:8]
	s_waitcnt vmcnt(1)
	v_fma_f64 v[3:4], v[14:15], v[24:25], v[10:11]
	v_fma_f64 v[5:6], v[12:13], v[24:25], v[1:2]
	v_fma_f64 v[7:8], -v[14:15], v[24:25], v[10:11]
	v_fma_f64 v[10:11], v[12:13], v[24:25], -v[1:2]
	v_fma_f64 v[1:2], -v[12:13], v[22:23], v[3:4]
	v_fma_f64 v[3:4], v[14:15], v[22:23], v[5:6]
	v_fma_f64 v[5:6], v[12:13], v[22:23], v[7:8]
	;; [unrolled: 1-line block ×3, first 2 shown]
	ds_write_b128 v139, v[1:4] offset:16384
	ds_write_b128 v9, v[5:8] offset:24576
	ds_read_b128 v[1:4], v139 offset:18432
	ds_read_b128 v[5:8], v9 offset:22528
	s_waitcnt lgkmcnt(0)
	v_add_f64 v[10:11], v[1:2], v[5:6]
	v_add_f64 v[12:13], v[7:8], v[3:4]
	v_add_f64 v[14:15], v[1:2], -v[5:6]
	v_add_f64 v[1:2], v[3:4], -v[7:8]
	s_waitcnt vmcnt(0)
	v_fma_f64 v[3:4], v[14:15], v[20:21], v[10:11]
	v_fma_f64 v[5:6], v[12:13], v[20:21], v[1:2]
	v_fma_f64 v[7:8], -v[14:15], v[20:21], v[10:11]
	v_fma_f64 v[10:11], v[12:13], v[20:21], -v[1:2]
	v_fma_f64 v[1:2], -v[12:13], v[18:19], v[3:4]
	v_fma_f64 v[3:4], v[14:15], v[18:19], v[5:6]
	v_fma_f64 v[5:6], v[12:13], v[18:19], v[7:8]
	;; [unrolled: 1-line block ×3, first 2 shown]
	ds_write_b128 v139, v[1:4] offset:18432
	ds_write_b128 v9, v[5:8] offset:22528
	s_waitcnt lgkmcnt(0)
	s_barrier
	buffer_gl0_inv
	s_barrier
	buffer_gl0_inv
	ds_read_b128 v[52:55], v139 offset:20480
	ds_read_b128 v[5:8], v139
	ds_read_b128 v[1:4], v139 offset:10240
	ds_read_b128 v[56:59], v139 offset:30720
	;; [unrolled: 1-line block ×18, first 2 shown]
	s_waitcnt lgkmcnt(0)
	v_add_f64 v[52:53], v[5:6], -v[52:53]
	v_add_f64 v[54:55], v[7:8], -v[54:55]
	v_add_f64 v[56:57], v[1:2], -v[56:57]
	v_add_f64 v[58:59], v[3:4], -v[58:59]
	v_add_f64 v[60:61], v[9:10], -v[60:61]
	v_add_f64 v[92:93], v[11:12], -v[62:63]
	v_add_f64 v[62:63], v[13:14], -v[64:65]
	v_add_f64 v[64:65], v[15:16], -v[66:67]
	v_add_f64 v[68:69], v[17:18], -v[68:69]
	v_add_f64 v[70:71], v[19:20], -v[70:71]
	v_add_f64 v[66:67], v[21:22], -v[72:73]
	v_add_f64 v[72:73], v[23:24], -v[74:75]
	v_add_f64 v[76:77], v[25:26], -v[76:77]
	v_add_f64 v[78:79], v[27:28], -v[78:79]
	v_add_f64 v[74:75], v[29:30], -v[80:81]
	v_add_f64 v[80:81], v[31:32], -v[82:83]
	v_add_f64 v[84:85], v[33:34], -v[84:85]
	v_add_f64 v[86:87], v[35:36], -v[86:87]
	v_add_f64 v[82:83], v[37:38], -v[88:89]
	v_add_f64 v[88:89], v[39:40], -v[90:91]
	s_barrier
	buffer_gl0_inv
	v_fma_f64 v[90:91], v[5:6], 2.0, -v[52:53]
	v_fma_f64 v[94:95], v[7:8], 2.0, -v[54:55]
	;; [unrolled: 1-line block ×20, first 2 shown]
	v_add_f64 v[1:2], v[52:53], v[58:59]
	v_add_f64 v[3:4], v[54:55], -v[56:57]
	v_add_f64 v[5:6], v[60:61], v[64:65]
	v_add_f64 v[17:18], v[68:69], v[72:73]
	v_add_f64 v[9:10], v[90:91], -v[7:8]
	v_add_f64 v[11:12], v[94:95], -v[96:97]
	;; [unrolled: 1-line block ×3, first 2 shown]
	v_add_f64 v[25:26], v[76:77], v[80:81]
	v_add_f64 v[13:14], v[98:99], -v[13:14]
	v_add_f64 v[15:16], v[100:101], -v[15:16]
	v_add_f64 v[33:34], v[84:85], v[88:89]
	v_lshl_add_u32 v96, v50, 6, 0
	v_add_f64 v[21:22], v[102:103], -v[19:20]
	v_add_f64 v[23:24], v[104:105], -v[23:24]
	;; [unrolled: 1-line block ×3, first 2 shown]
	v_lshl_add_u32 v97, v51, 6, 0
	v_add_f64 v[29:30], v[106:107], -v[27:28]
	v_add_f64 v[31:32], v[108:109], -v[31:32]
	;; [unrolled: 1-line block ×6, first 2 shown]
	v_fma_f64 v[52:53], v[52:53], 2.0, -v[1:2]
	v_fma_f64 v[54:55], v[54:55], 2.0, -v[3:4]
	;; [unrolled: 1-line block ×14, first 2 shown]
	v_lshlrev_b32_e32 v92, 4, v117
	v_fma_f64 v[80:81], v[106:107], 2.0, -v[29:30]
	v_fma_f64 v[82:83], v[108:109], 2.0, -v[31:32]
	;; [unrolled: 1-line block ×6, first 2 shown]
	ds_write_b128 v114, v[1:4] offset:48
	ds_write_b128 v114, v[52:55] offset:16
	;; [unrolled: 1-line block ×3, first 2 shown]
	ds_write_b128 v114, v[60:63]
	ds_write_b128 v115, v[64:67]
	ds_write_b128 v115, v[56:59] offset:16
	ds_write_b128 v115, v[13:16] offset:32
	ds_write_b128 v115, v[5:8] offset:48
	ds_write_b128 v116, v[72:75]
	ds_write_b128 v116, v[68:71] offset:16
	ds_write_b128 v116, v[21:24] offset:32
	ds_write_b128 v116, v[17:20] offset:48
	ds_write_b128 v96, v[80:83]
	ds_write_b128 v96, v[76:79] offset:16
	ds_write_b128 v96, v[29:32] offset:32
	ds_write_b128 v96, v[25:28] offset:48
	ds_write_b128 v97, v[88:91]
	ds_write_b128 v97, v[84:87] offset:16
	ds_write_b128 v97, v[37:40] offset:32
	ds_write_b128 v97, v[33:36] offset:48
	s_waitcnt lgkmcnt(0)
	s_barrier
	buffer_gl0_inv
	s_clause 0x2
	global_load_dwordx4 v[5:8], v92, s[12:13]
	global_load_dwordx4 v[1:4], v92, s[12:13] offset:16
	global_load_dwordx4 v[9:12], v92, s[12:13] offset:32
	ds_read_b128 v[19:22], v139 offset:10240
	ds_read_b128 v[23:26], v139 offset:12288
	v_lshlrev_b32_e32 v13, 2, v45
	v_lshlrev_b32_e32 v18, 2, v49
	;; [unrolled: 1-line block ×4, first 2 shown]
	v_and_b32_e32 v14, 15, v0
	v_and_or_b32 v27, 0x1f0, v13, v46
	v_lshlrev_b32_e32 v17, 2, v47
	v_and_or_b32 v143, 0x5f0, v18, v46
	v_lshrrev_b32_e32 v47, 6, v47
	v_mul_u32_u24_e32 v140, 3, v14
	v_lshl_add_u32 v141, v27, 4, 0
	ds_read_b128 v[27:30], v139 offset:14336
	ds_read_b128 v[31:34], v139 offset:8192
	;; [unrolled: 1-line block ×14, first 2 shown]
	ds_read_b128 v[93:96], v139
	ds_read_b128 v[97:100], v139 offset:2048
	v_and_or_b32 v142, 0x3f0, v17, v46
	v_and_or_b32 v144, 0x3c0, v17, v14
	;; [unrolled: 1-line block ×3, first 2 shown]
	v_mul_u32_u24_e32 v47, 0x280, v47
	s_waitcnt vmcnt(2) lgkmcnt(16)
	v_mul_f64 v[103:104], v[25:26], v[7:8]
	v_mul_f64 v[105:106], v[23:24], v[7:8]
	s_waitcnt lgkmcnt(15)
	v_mul_f64 v[107:108], v[29:30], v[7:8]
	v_mul_f64 v[109:110], v[27:28], v[7:8]
	s_waitcnt lgkmcnt(13)
	v_mul_f64 v[111:112], v[37:38], v[7:8]
	v_mul_f64 v[39:40], v[21:22], v[7:8]
	;; [unrolled: 1-line block ×4, first 2 shown]
	s_waitcnt lgkmcnt(12)
	v_mul_f64 v[115:116], v[51:52], v[7:8]
	v_mul_f64 v[7:8], v[49:50], v[7:8]
	s_waitcnt vmcnt(1) lgkmcnt(11)
	v_mul_f64 v[117:118], v[55:56], v[3:4]
	v_mul_f64 v[119:120], v[53:54], v[3:4]
	s_waitcnt lgkmcnt(10)
	v_mul_f64 v[121:122], v[59:60], v[3:4]
	v_mul_f64 v[123:124], v[57:58], v[3:4]
	s_waitcnt lgkmcnt(9)
	;; [unrolled: 3-line block ×4, first 2 shown]
	v_mul_f64 v[133:134], v[71:72], v[3:4]
	v_mul_f64 v[135:136], v[69:70], v[3:4]
	s_waitcnt vmcnt(0) lgkmcnt(6)
	v_mul_f64 v[137:138], v[75:76], v[11:12]
	v_fma_f64 v[23:24], v[23:24], v[5:6], v[103:104]
	v_mul_f64 v[103:104], v[73:74], v[11:12]
	v_fma_f64 v[25:26], v[25:26], v[5:6], -v[105:106]
	s_waitcnt lgkmcnt(5)
	v_mul_f64 v[105:106], v[79:80], v[11:12]
	v_fma_f64 v[27:28], v[27:28], v[5:6], v[107:108]
	v_mul_f64 v[107:108], v[77:78], v[11:12]
	v_fma_f64 v[29:30], v[29:30], v[5:6], -v[109:110]
	s_waitcnt lgkmcnt(4)
	v_mul_f64 v[109:110], v[83:84], v[11:12]
	v_fma_f64 v[35:36], v[35:36], v[5:6], v[111:112]
	v_mul_f64 v[111:112], v[81:82], v[11:12]
	v_fma_f64 v[37:38], v[37:38], v[5:6], -v[113:114]
	s_waitcnt lgkmcnt(3)
	v_mul_f64 v[113:114], v[87:88], v[11:12]
	v_fma_f64 v[7:8], v[51:52], v[5:6], -v[7:8]
	v_mul_f64 v[51:52], v[85:86], v[11:12]
	v_fma_f64 v[49:50], v[49:50], v[5:6], v[115:116]
	s_waitcnt lgkmcnt(2)
	v_mul_f64 v[115:116], v[91:92], v[11:12]
	v_mul_f64 v[11:12], v[89:90], v[11:12]
	v_fma_f64 v[39:40], v[19:20], v[5:6], v[39:40]
	v_fma_f64 v[101:102], v[21:22], v[5:6], -v[101:102]
	v_fma_f64 v[53:54], v[53:54], v[1:2], v[117:118]
	v_fma_f64 v[55:56], v[55:56], v[1:2], -v[119:120]
	;; [unrolled: 2-line block ×11, first 2 shown]
	ds_read_b128 v[3:6], v139 offset:4096
	ds_read_b128 v[19:22], v139 offset:6144
	v_and_or_b32 v121, 0x7f0, v15, v46
	s_waitcnt lgkmcnt(3)
	v_add_f64 v[87:88], v[93:94], -v[53:54]
	v_add_f64 v[89:90], v[95:96], -v[55:56]
	s_waitcnt lgkmcnt(2)
	v_add_f64 v[91:92], v[97:98], -v[57:58]
	v_add_f64 v[103:104], v[99:100], -v[59:60]
	v_and_or_b32 v46, 0x9f0, v16, v46
	v_lshlrev_b32_e32 v122, 4, v140
	v_lshl_add_u32 v123, v142, 4, 0
	v_lshl_add_u32 v124, v143, 4, 0
	v_add_f64 v[113:114], v[31:32], -v[69:70]
	v_add_f64 v[115:116], v[33:34], -v[1:2]
	;; [unrolled: 1-line block ×8, first 2 shown]
	v_lshl_add_u32 v121, v121, 4, 0
	s_waitcnt lgkmcnt(1)
	v_add_f64 v[105:106], v[3:4], -v[61:62]
	v_add_f64 v[107:108], v[5:6], -v[63:64]
	s_waitcnt lgkmcnt(0)
	v_add_f64 v[109:110], v[19:20], -v[65:66]
	v_add_f64 v[111:112], v[21:22], -v[67:68]
	;; [unrolled: 1-line block ×6, first 2 shown]
	v_fma_f64 v[77:78], v[93:94], 2.0, -v[87:88]
	v_fma_f64 v[79:80], v[95:96], 2.0, -v[89:90]
	;; [unrolled: 1-line block ×12, first 2 shown]
	v_add_f64 v[1:2], v[87:88], v[1:2]
	v_fma_f64 v[85:86], v[3:4], 2.0, -v[105:106]
	v_fma_f64 v[93:94], v[5:6], 2.0, -v[107:108]
	;; [unrolled: 1-line block ×8, first 2 shown]
	v_add_f64 v[3:4], v[89:90], -v[11:12]
	v_add_f64 v[5:6], v[91:92], v[55:56]
	v_add_f64 v[7:8], v[103:104], -v[53:54]
	v_add_f64 v[9:10], v[105:106], v[59:60]
	;; [unrolled: 2-line block ×4, first 2 shown]
	v_add_f64 v[25:26], v[115:116], -v[63:64]
	v_add_f64 v[27:28], v[77:78], -v[31:32]
	;; [unrolled: 1-line block ×5, first 2 shown]
	v_fma_f64 v[57:58], v[87:88], 2.0, -v[1:2]
	v_add_f64 v[35:36], v[85:86], -v[69:70]
	v_add_f64 v[37:38], v[93:94], -v[71:72]
	v_lshl_add_u32 v39, v46, 4, 0
	s_barrier
	v_add_f64 v[49:50], v[95:96], -v[73:74]
	v_add_f64 v[51:52], v[97:98], -v[75:76]
	;; [unrolled: 1-line block ×4, first 2 shown]
	v_fma_f64 v[59:60], v[89:90], 2.0, -v[3:4]
	v_fma_f64 v[61:62], v[91:92], 2.0, -v[5:6]
	;; [unrolled: 1-line block ×13, first 2 shown]
	buffer_gl0_inv
	v_fma_f64 v[85:86], v[85:86], 2.0, -v[35:36]
	v_fma_f64 v[87:88], v[93:94], 2.0, -v[37:38]
	v_and_b32_e32 v40, 63, v0
	v_and_or_b32 v0, 0x1c0, v13, v14
	v_fma_f64 v[89:90], v[95:96], 2.0, -v[49:50]
	v_fma_f64 v[91:92], v[97:98], 2.0, -v[51:52]
	;; [unrolled: 1-line block ×4, first 2 shown]
	ds_write_b128 v141, v[1:4] offset:192
	ds_write_b128 v123, v[5:8] offset:192
	;; [unrolled: 1-line block ×15, first 2 shown]
	ds_write_b128 v141, v[77:80]
	ds_write_b128 v123, v[81:84]
	;; [unrolled: 1-line block ×5, first 2 shown]
	s_waitcnt lgkmcnt(0)
	s_barrier
	buffer_gl0_inv
	s_clause 0x2
	global_load_dwordx4 v[5:8], v122, s[12:13] offset:192
	global_load_dwordx4 v[1:4], v122, s[12:13] offset:208
	;; [unrolled: 1-line block ×3, first 2 shown]
	ds_read_b128 v[19:22], v139 offset:10240
	ds_read_b128 v[23:26], v139 offset:12288
	;; [unrolled: 1-line block ×16, first 2 shown]
	v_lshl_add_u32 v46, v0, 4, 0
	ds_read_b128 v[93:96], v139
	ds_read_b128 v[97:100], v139 offset:2048
	v_mul_u32_u24_e32 v39, 9, v40
	s_waitcnt vmcnt(2) lgkmcnt(17)
	v_mul_f64 v[101:102], v[19:20], v[7:8]
	s_waitcnt lgkmcnt(16)
	v_mul_f64 v[103:104], v[25:26], v[7:8]
	v_mul_f64 v[105:106], v[23:24], v[7:8]
	s_waitcnt lgkmcnt(15)
	v_mul_f64 v[107:108], v[29:30], v[7:8]
	;; [unrolled: 3-line block ×3, first 2 shown]
	v_mul_f64 v[113:114], v[35:36], v[7:8]
	v_mul_f64 v[17:18], v[21:22], v[7:8]
	s_waitcnt lgkmcnt(12)
	v_mul_f64 v[115:116], v[51:52], v[7:8]
	v_mul_f64 v[7:8], v[49:50], v[7:8]
	s_waitcnt vmcnt(1) lgkmcnt(11)
	v_mul_f64 v[117:118], v[55:56], v[3:4]
	v_mul_f64 v[119:120], v[53:54], v[3:4]
	s_waitcnt lgkmcnt(10)
	v_mul_f64 v[121:122], v[59:60], v[3:4]
	v_mul_f64 v[123:124], v[57:58], v[3:4]
	s_waitcnt lgkmcnt(9)
	v_mul_f64 v[125:126], v[63:64], v[3:4]
	v_mul_f64 v[127:128], v[61:62], v[3:4]
	s_waitcnt lgkmcnt(8)
	v_mul_f64 v[129:130], v[67:68], v[3:4]
	v_mul_f64 v[131:132], v[65:66], v[3:4]
	s_waitcnt lgkmcnt(7)
	v_mul_f64 v[133:134], v[71:72], v[3:4]
	v_mul_f64 v[135:136], v[69:70], v[3:4]
	s_waitcnt vmcnt(0) lgkmcnt(6)
	v_mul_f64 v[137:138], v[75:76], v[11:12]
	s_waitcnt lgkmcnt(5)
	v_mul_f64 v[142:143], v[79:80], v[11:12]
	v_fma_f64 v[21:22], v[21:22], v[5:6], -v[101:102]
	v_mul_f64 v[101:102], v[73:74], v[11:12]
	v_fma_f64 v[23:24], v[23:24], v[5:6], v[103:104]
	v_mul_f64 v[103:104], v[77:78], v[11:12]
	v_fma_f64 v[25:26], v[25:26], v[5:6], -v[105:106]
	s_waitcnt lgkmcnt(4)
	v_mul_f64 v[105:106], v[83:84], v[11:12]
	v_fma_f64 v[27:28], v[27:28], v[5:6], v[107:108]
	v_mul_f64 v[107:108], v[81:82], v[11:12]
	v_fma_f64 v[29:30], v[29:30], v[5:6], -v[109:110]
	s_waitcnt lgkmcnt(3)
	;; [unrolled: 5-line block ×3, first 2 shown]
	v_mul_f64 v[113:114], v[91:92], v[11:12]
	v_mul_f64 v[11:12], v[89:90], v[11:12]
	v_fma_f64 v[140:141], v[19:20], v[5:6], v[17:18]
	v_fma_f64 v[7:8], v[51:52], v[5:6], -v[7:8]
	v_fma_f64 v[51:52], v[53:54], v[1:2], v[117:118]
	v_fma_f64 v[53:54], v[55:56], v[1:2], -v[119:120]
	;; [unrolled: 2-line block ×10, first 2 shown]
	v_fma_f64 v[49:50], v[49:50], v[5:6], v[115:116]
	v_fma_f64 v[85:86], v[89:90], v[9:10], v[113:114]
	v_fma_f64 v[9:10], v[91:92], v[9:10], -v[11:12]
	ds_read_b128 v[3:6], v139 offset:4096
	ds_read_b128 v[17:20], v139 offset:6144
	s_waitcnt lgkmcnt(3)
	v_add_f64 v[51:52], v[93:94], -v[51:52]
	v_add_f64 v[53:54], v[95:96], -v[53:54]
	v_and_or_b32 v2, 0x7c0, v15, v14
	s_waitcnt lgkmcnt(2)
	v_add_f64 v[57:58], v[99:100], -v[57:58]
	v_and_or_b32 v113, 0x9c0, v16, v14
	v_add_f64 v[55:56], v[97:98], -v[55:56]
	v_lshlrev_b32_e32 v114, 4, v39
	v_lshl_add_u32 v117, v2, 4, 0
	v_add_f64 v[67:68], v[31:32], -v[67:68]
	v_add_f64 v[87:88], v[33:34], -v[0:1]
	;; [unrolled: 1-line block ×10, first 2 shown]
	s_waitcnt lgkmcnt(1)
	v_add_f64 v[59:60], v[3:4], -v[59:60]
	v_add_f64 v[61:62], v[5:6], -v[61:62]
	s_waitcnt lgkmcnt(0)
	v_add_f64 v[63:64], v[17:18], -v[63:64]
	v_add_f64 v[65:66], v[19:20], -v[65:66]
	;; [unrolled: 1-line block ×4, first 2 shown]
	v_fma_f64 v[81:82], v[93:94], 2.0, -v[51:52]
	v_fma_f64 v[83:84], v[95:96], 2.0, -v[53:54]
	;; [unrolled: 1-line block ×4, first 2 shown]
	v_lshl_add_u32 v115, v144, 4, 0
	v_lshl_add_u32 v116, v145, 4, 0
	v_fma_f64 v[99:100], v[31:32], 2.0, -v[67:68]
	v_fma_f64 v[101:102], v[33:34], 2.0, -v[87:88]
	;; [unrolled: 1-line block ×16, first 2 shown]
	v_add_f64 v[0:1], v[51:52], v[0:1]
	v_add_f64 v[2:3], v[53:54], -v[11:12]
	v_add_f64 v[4:5], v[55:56], v[15:16]
	v_add_f64 v[6:7], v[57:58], -v[13:14]
	;; [unrolled: 2-line block ×5, first 2 shown]
	v_add_f64 v[20:21], v[81:82], -v[31:32]
	v_add_f64 v[22:23], v[83:84], -v[33:34]
	;; [unrolled: 1-line block ×4, first 2 shown]
	v_lshl_add_u32 v103, v113, 4, 0
	v_add_f64 v[28:29], v[91:92], -v[107:108]
	v_add_f64 v[30:31], v[93:94], -v[109:110]
	;; [unrolled: 1-line block ×6, first 2 shown]
	v_fma_f64 v[49:50], v[51:52], 2.0, -v[0:1]
	v_fma_f64 v[51:52], v[53:54], 2.0, -v[2:3]
	;; [unrolled: 1-line block ×14, first 2 shown]
	s_barrier
	buffer_gl0_inv
	v_fma_f64 v[77:78], v[91:92], 2.0, -v[28:29]
	v_fma_f64 v[79:80], v[93:94], 2.0, -v[30:31]
	v_fma_f64 v[81:82], v[95:96], 2.0, -v[32:33]
	v_fma_f64 v[83:84], v[97:98], 2.0, -v[34:35]
	v_fma_f64 v[85:86], v[99:100], 2.0, -v[36:37]
	v_fma_f64 v[87:88], v[101:102], 2.0, -v[38:39]
	ds_write_b128 v46, v[0:3] offset:768
	ds_write_b128 v115, v[4:7] offset:768
	;; [unrolled: 1-line block ×15, first 2 shown]
	ds_write_b128 v46, v[69:72]
	ds_write_b128 v115, v[73:76]
	;; [unrolled: 1-line block ×5, first 2 shown]
	s_waitcnt lgkmcnt(0)
	s_barrier
	buffer_gl0_inv
	s_clause 0x8
	global_load_dwordx4 v[0:3], v114, s[12:13] offset:960
	global_load_dwordx4 v[4:7], v114, s[12:13] offset:976
	;; [unrolled: 1-line block ×9, first 2 shown]
	ds_read_b128 v[8:11], v139 offset:4096
	ds_read_b128 v[12:15], v139 offset:6144
	;; [unrolled: 1-line block ×18, first 2 shown]
	v_lshrrev_b32_e32 v46, 6, v45
	v_mul_u32_u24_e32 v46, 0x280, v46
	v_or_b32_e32 v46, v46, v40
	v_or_b32_e32 v40, v47, v40
	v_lshl_add_u32 v40, v40, 4, 0
	s_waitcnt vmcnt(8) lgkmcnt(17)
	v_mul_f64 v[93:94], v[10:11], v[2:3]
	v_mul_f64 v[95:96], v[8:9], v[2:3]
	s_waitcnt lgkmcnt(16)
	v_mul_f64 v[97:98], v[14:15], v[2:3]
	v_mul_f64 v[2:3], v[12:13], v[2:3]
	s_waitcnt vmcnt(7) lgkmcnt(15)
	v_mul_f64 v[101:102], v[34:35], v[6:7]
	v_mul_f64 v[103:104], v[32:33], v[6:7]
	s_waitcnt lgkmcnt(14)
	v_mul_f64 v[109:110], v[38:39], v[6:7]
	v_mul_f64 v[6:7], v[36:37], v[6:7]
	s_waitcnt vmcnt(6) lgkmcnt(13)
	v_mul_f64 v[111:112], v[55:56], v[18:19]
	v_mul_f64 v[113:114], v[53:54], v[18:19]
	s_waitcnt lgkmcnt(12)
	v_mul_f64 v[117:118], v[67:68], v[18:19]
	v_mul_f64 v[18:19], v[65:66], v[18:19]
	s_waitcnt vmcnt(4) lgkmcnt(7)
	v_mul_f64 v[148:149], v[85:86], v[22:23]
	v_mul_f64 v[150:151], v[69:70], v[26:27]
	;; [unrolled: 1-line block ×5, first 2 shown]
	v_fma_f64 v[107:108], v[8:9], v[0:1], v[93:94]
	v_fma_f64 v[105:106], v[10:11], v[0:1], -v[95:96]
	v_mul_f64 v[93:94], v[87:88], v[22:23]
	v_fma_f64 v[99:100], v[12:13], v[0:1], v[97:98]
	v_fma_f64 v[97:98], v[14:15], v[0:1], -v[2:3]
	s_waitcnt lgkmcnt(6)
	v_mul_f64 v[0:1], v[91:92], v[22:23]
	v_mul_f64 v[2:3], v[89:90], v[22:23]
	v_fma_f64 v[8:9], v[32:33], v[4:5], v[101:102]
	v_fma_f64 v[10:11], v[34:35], v[4:5], -v[103:104]
	s_waitcnt vmcnt(3) lgkmcnt(3)
	v_mul_f64 v[22:23], v[131:132], v[30:31]
	v_mul_f64 v[32:33], v[129:130], v[30:31]
	v_fma_f64 v[12:13], v[36:37], v[4:5], v[109:110]
	v_fma_f64 v[14:15], v[38:39], v[4:5], -v[6:7]
	s_waitcnt lgkmcnt(2)
	v_mul_f64 v[4:5], v[135:136], v[30:31]
	v_mul_f64 v[6:7], v[133:134], v[30:31]
	v_fma_f64 v[95:96], v[53:54], v[16:17], v[111:112]
	s_waitcnt vmcnt(2)
	v_mul_f64 v[53:54], v[77:78], v[51:52]
	v_fma_f64 v[111:112], v[65:66], v[16:17], v[117:118]
	v_fma_f64 v[101:102], v[67:68], v[16:17], -v[18:19]
	s_waitcnt vmcnt(1)
	v_mul_f64 v[67:68], v[121:122], v[59:60]
	v_fma_f64 v[117:118], v[87:88], v[20:21], -v[148:149]
	s_waitcnt vmcnt(0) lgkmcnt(1)
	v_mul_f64 v[87:88], v[140:141], v[63:64]
	v_mul_f64 v[30:31], v[79:80], v[51:52]
	;; [unrolled: 1-line block ×4, first 2 shown]
	v_fma_f64 v[115:116], v[55:56], v[16:17], -v[113:114]
	v_mul_f64 v[55:56], v[83:84], v[51:52]
	v_mul_f64 v[51:52], v[81:82], v[51:52]
	v_fma_f64 v[119:120], v[85:86], v[20:21], v[93:94]
	v_mul_f64 v[85:86], v[127:128], v[59:60]
	v_fma_f64 v[113:114], v[89:90], v[20:21], v[0:1]
	v_fma_f64 v[109:110], v[91:92], v[20:21], -v[2:3]
	v_mul_f64 v[59:60], v[125:126], v[59:60]
	s_waitcnt lgkmcnt(0)
	v_mul_f64 v[89:90], v[146:147], v[63:64]
	v_mul_f64 v[63:64], v[144:145], v[63:64]
	v_fma_f64 v[22:23], v[129:130], v[28:29], v[22:23]
	v_fma_f64 v[20:21], v[131:132], v[28:29], -v[32:33]
	v_fma_f64 v[18:19], v[133:134], v[28:29], v[4:5]
	v_fma_f64 v[16:17], v[135:136], v[28:29], -v[6:7]
	v_fma_f64 v[36:37], v[71:72], v[24:25], -v[150:151]
	;; [unrolled: 1-line block ×4, first 2 shown]
	v_fma_f64 v[38:39], v[69:70], v[24:25], v[137:138]
	v_fma_f64 v[28:29], v[142:143], v[61:62], -v[87:88]
	v_fma_f64 v[135:136], v[77:78], v[49:50], v[30:31]
	v_fma_f64 v[133:134], v[121:122], v[57:58], v[65:66]
	;; [unrolled: 1-line block ×4, first 2 shown]
	v_fma_f64 v[34:35], v[75:76], v[24:25], -v[26:27]
	v_fma_f64 v[53:54], v[81:82], v[49:50], v[55:56]
	v_fma_f64 v[49:50], v[83:84], v[49:50], -v[51:52]
	v_fma_f64 v[55:56], v[125:126], v[57:58], v[85:86]
	ds_read_b128 v[4:7], v139
	ds_read_b128 v[0:3], v139 offset:2048
	v_add_f64 v[71:72], v[101:102], v[109:110]
	v_fma_f64 v[51:52], v[127:128], v[57:58], -v[59:60]
	v_add_f64 v[57:58], v[95:96], v[119:120]
	v_fma_f64 v[24:25], v[146:147], v[61:62], -v[63:64]
	v_add_f64 v[59:60], v[8:9], v[22:23]
	v_add_f64 v[63:64], v[115:116], v[117:118]
	v_fma_f64 v[26:27], v[144:145], v[61:62], v[89:90]
	v_add_f64 v[77:78], v[14:15], v[16:17]
	v_add_f64 v[65:66], v[10:11], v[20:21]
	v_add_f64 v[121:122], v[36:37], -v[129:130]
	v_add_f64 v[67:68], v[111:112], v[113:114]
	v_add_f64 v[69:70], v[12:13], v[18:19]
	v_add_f64 v[123:124], v[28:29], -v[131:132]
	v_add_f64 v[81:82], v[8:9], -v[95:96]
	v_add_f64 v[83:84], v[22:23], -v[119:120]
	v_add_f64 v[89:90], v[10:11], -v[115:116]
	v_add_f64 v[91:92], v[20:21], -v[117:118]
	v_add_f64 v[93:94], v[38:39], -v[135:136]
	v_add_f64 v[103:104], v[30:31], -v[133:134]
	v_add_f64 v[125:126], v[95:96], -v[8:9]
	v_add_f64 v[127:128], v[119:120], -v[22:23]
	v_add_f64 v[137:138], v[115:116], -v[10:11]
	v_add_f64 v[140:141], v[117:118], -v[20:21]
	s_waitcnt lgkmcnt(1)
	v_add_f64 v[79:80], v[4:5], v[8:9]
	v_add_f64 v[142:143], v[135:136], -v[38:39]
	v_add_f64 v[144:145], v[133:134], -v[30:31]
	v_fma_f64 v[57:58], v[57:58], -0.5, v[4:5]
	v_fma_f64 v[61:62], v[59:60], -0.5, v[4:5]
	;; [unrolled: 1-line block ×3, first 2 shown]
	s_waitcnt lgkmcnt(0)
	v_fma_f64 v[75:76], v[71:72], -0.5, v[2:3]
	v_fma_f64 v[85:86], v[77:78], -0.5, v[2:3]
	v_add_f64 v[71:72], v[14:15], -v[101:102]
	v_add_f64 v[77:78], v[16:17], -v[109:110]
	v_add_f64 v[146:147], v[6:7], v[10:11]
	v_add_f64 v[63:64], v[121:122], v[123:124]
	v_add_f64 v[121:122], v[111:112], -v[12:13]
	v_add_f64 v[123:124], v[113:114], -v[18:19]
	v_add_f64 v[148:149], v[0:1], v[12:13]
	v_add_f64 v[150:151], v[2:3], v[14:15]
	v_fma_f64 v[59:60], v[65:66], -0.5, v[6:7]
	v_fma_f64 v[73:74], v[67:68], -0.5, v[0:1]
	;; [unrolled: 1-line block ×3, first 2 shown]
	v_add_f64 v[0:1], v[81:82], v[83:84]
	v_add_f64 v[2:3], v[89:90], v[91:92]
	v_add_f64 v[83:84], v[32:33], -v[53:54]
	v_add_f64 v[6:7], v[93:94], v[103:104]
	v_add_f64 v[91:92], v[26:27], -v[55:56]
	v_add_f64 v[93:94], v[34:35], -v[49:50]
	v_add_f64 v[65:66], v[125:126], v[127:128]
	v_add_f64 v[103:104], v[24:25], -v[51:52]
	v_add_f64 v[67:68], v[137:138], v[140:141]
	v_add_f64 v[125:126], v[101:102], -v[14:15]
	v_add_f64 v[127:128], v[109:110], -v[16:17]
	;; [unrolled: 1-line block ×4, first 2 shown]
	v_add_f64 v[81:82], v[142:143], v[144:145]
	v_add_f64 v[71:72], v[71:72], v[77:78]
	v_add_f64 v[142:143], v[49:50], -v[34:35]
	v_add_f64 v[77:78], v[121:122], v[123:124]
	v_add_f64 v[121:122], v[51:52], -v[24:25]
	v_add_f64 v[123:124], v[79:80], v[95:96]
	v_add_f64 v[144:145], v[148:149], v[111:112]
	v_add_f64 v[152:153], v[129:130], -v[36:37]
	v_add_f64 v[154:155], v[131:132], -v[28:29]
	;; [unrolled: 1-line block ×6, first 2 shown]
	v_add_f64 v[83:84], v[83:84], v[91:92]
	v_add_f64 v[12:13], v[12:13], -v[18:19]
	v_add_f64 v[14:15], v[14:15], -v[16:17]
	v_add_f64 v[91:92], v[93:94], v[103:104]
	v_add_f64 v[103:104], v[95:96], -v[119:120]
	v_add_f64 v[79:80], v[125:126], v[127:128]
	v_add_f64 v[125:126], v[135:136], v[133:134]
	;; [unrolled: 1-line block ×5, first 2 shown]
	s_barrier
	buffer_gl0_inv
	v_add_f64 v[95:96], v[142:143], v[121:122]
	v_add_f64 v[121:122], v[129:130], v[131:132]
	v_add_f64 v[127:128], v[123:124], v[119:120]
	v_add_f64 v[89:90], v[152:153], v[154:155]
	v_add_f64 v[69:70], v[156:157], v[69:70]
	v_fma_f64 v[119:120], v[125:126], -0.5, v[107:108]
	v_fma_f64 v[123:124], v[137:138], -0.5, v[107:108]
	v_add_f64 v[107:108], v[107:108], v[38:39]
	v_fma_f64 v[125:126], v[140:141], -0.5, v[105:106]
	v_add_f64 v[137:138], v[146:147], v[115:116]
	v_add_f64 v[146:147], v[53:54], v[55:56]
	v_fma_f64 v[121:122], v[121:122], -0.5, v[105:106]
	v_add_f64 v[105:106], v[105:106], v[36:37]
	v_add_f64 v[38:39], v[38:39], -v[30:31]
	v_add_f64 v[36:37], v[36:37], -v[28:29]
	v_add_f64 v[22:23], v[127:128], v[22:23]
	v_fma_f64 v[127:128], v[103:104], s[22:23], v[59:60]
	v_fma_f64 v[59:60], v[103:104], s[6:7], v[59:60]
	v_add_f64 v[140:141], v[107:108], v[135:136]
	v_add_f64 v[107:108], v[115:116], -v[117:118]
	v_add_f64 v[115:116], v[135:136], -v[133:134]
	v_add_f64 v[135:136], v[137:138], v[117:118]
	v_add_f64 v[117:118], v[129:130], -v[131:132]
	v_add_f64 v[142:143], v[105:106], v[129:130]
	v_add_f64 v[129:130], v[49:50], v[51:52]
	v_add_f64 v[105:106], v[111:112], -v[113:114]
	v_add_f64 v[137:138], v[144:145], v[113:114]
	v_fma_f64 v[111:112], v[146:147], -0.5, v[99:100]
	v_add_f64 v[144:145], v[150:151], v[101:102]
	v_lshl_add_u32 v147, v46, 4, 0
	v_add_f64 v[46:47], v[49:50], -v[51:52]
	v_fma_f64 v[127:128], v[8:9], s[4:5], v[127:128]
	v_fma_f64 v[59:60], v[8:9], s[20:21], v[59:60]
	v_add_f64 v[133:134], v[140:141], v[133:134]
	v_add_f64 v[140:141], v[32:33], v[26:27]
	;; [unrolled: 1-line block ×6, first 2 shown]
	v_fma_f64 v[18:19], v[38:39], s[6:7], v[121:122]
	v_fma_f64 v[121:122], v[38:39], s[22:23], v[121:122]
	;; [unrolled: 1-line block ×3, first 2 shown]
	v_add_f64 v[30:31], v[133:134], v[30:31]
	v_fma_f64 v[113:114], v[140:141], -0.5, v[99:100]
	v_add_f64 v[140:141], v[99:100], v[32:33]
	v_fma_f64 v[99:100], v[129:130], -0.5, v[97:98]
	v_add_f64 v[32:33], v[32:33], -v[26:27]
	v_fma_f64 v[133:134], v[115:116], s[22:23], v[125:126]
	v_fma_f64 v[129:130], v[142:143], -0.5, v[97:98]
	v_add_f64 v[142:143], v[97:98], v[34:35]
	v_add_f64 v[97:98], v[101:102], -v[109:110]
	v_add_f64 v[101:102], v[144:145], v[109:110]
	v_fma_f64 v[125:126], v[115:116], s[6:7], v[125:126]
	v_add_f64 v[28:29], v[131:132], v[28:29]
	v_fma_f64 v[131:132], v[117:118], s[6:7], v[123:124]
	v_fma_f64 v[123:124], v[117:118], s[22:23], v[123:124]
	v_add_f64 v[34:35], v[34:35], -v[24:25]
	v_fma_f64 v[137:138], v[115:116], s[4:5], v[18:19]
	v_fma_f64 v[115:116], v[115:116], s[20:21], v[121:122]
	;; [unrolled: 1-line block ×3, first 2 shown]
	v_add_f64 v[140:141], v[140:141], v[53:54]
	v_add_f64 v[53:54], v[53:54], -v[55:56]
	v_fma_f64 v[113:114], v[46:47], s[22:23], v[113:114]
	v_fma_f64 v[133:134], v[38:39], s[4:5], v[133:134]
	v_add_f64 v[109:110], v[142:143], v[49:50]
	v_mul_u32_u24_e32 v142, 3, v45
	v_add_f64 v[101:102], v[101:102], v[16:17]
	v_fma_f64 v[16:17], v[10:11], s[22:23], v[57:58]
	v_fma_f64 v[38:39], v[38:39], s[20:21], v[125:126]
	;; [unrolled: 1-line block ×4, first 2 shown]
	v_add_f64 v[55:56], v[140:141], v[55:56]
	v_fma_f64 v[125:126], v[53:54], s[22:23], v[129:130]
	v_fma_f64 v[129:130], v[53:54], s[6:7], v[129:130]
	v_lshlrev_b32_e32 v140, 4, v142
	v_add_f64 v[49:50], v[109:110], v[51:52]
	v_fma_f64 v[51:52], v[107:108], s[6:7], v[61:62]
	v_fma_f64 v[61:62], v[107:108], s[22:23], v[61:62]
	;; [unrolled: 1-line block ×7, first 2 shown]
	v_add_co_u32 v145, s0, s12, v140
	v_add_co_ci_u32_e64 v146, null, s13, 0, s0
	v_add_nc_u32_e32 v144, 0x6000, v140
	v_add_co_u32 v109, s0, 0x2000, v145
	v_add_co_ci_u32_e64 v110, s0, 0, v146, s0
	v_add_f64 v[26:27], v[55:56], v[26:27]
	v_fma_f64 v[55:56], v[8:9], s[6:7], v[4:5]
	v_fma_f64 v[4:5], v[8:9], s[22:23], v[4:5]
	;; [unrolled: 1-line block ×4, first 2 shown]
	v_add_f64 v[24:25], v[49:50], v[24:25]
	v_fma_f64 v[49:50], v[36:37], s[22:23], v[119:120]
	v_fma_f64 v[119:120], v[36:37], s[6:7], v[119:120]
	;; [unrolled: 1-line block ×14, first 2 shown]
	v_add_co_u32 v140, s0, 0x27c0, v145
	v_add_co_ci_u32_e64 v141, s0, 0, v146, s0
	v_fma_f64 v[55:56], v[103:104], s[4:5], v[55:56]
	v_fma_f64 v[4:5], v[103:104], s[20:21], v[4:5]
	;; [unrolled: 1-line block ×13, first 2 shown]
	v_add_f64 v[10:11], v[20:21], v[28:29]
	v_add_f64 v[14:15], v[20:21], -v[28:29]
	v_fma_f64 v[28:29], v[63:64], s[8:9], v[137:138]
	v_add_f64 v[20:21], v[135:136], -v[26:27]
	v_fma_f64 v[63:64], v[63:64], s[8:9], v[115:116]
	v_fma_f64 v[51:52], v[65:66], s[8:9], v[51:52]
	;; [unrolled: 1-line block ×5, first 2 shown]
	v_add_f64 v[8:9], v[22:23], v[30:31]
	v_add_f64 v[12:13], v[22:23], -v[30:31]
	v_fma_f64 v[99:100], v[46:47], s[20:21], v[103:104]
	v_fma_f64 v[103:104], v[97:98], s[20:21], v[16:17]
	v_add_f64 v[16:17], v[135:136], v[26:27]
	v_fma_f64 v[26:27], v[89:90], s[8:9], v[133:134]
	v_fma_f64 v[46:47], v[46:47], s[4:5], v[111:112]
	;; [unrolled: 1-line block ×7, first 2 shown]
	v_add_f64 v[18:19], v[101:102], v[24:25]
	v_add_f64 v[22:23], v[101:102], -v[24:25]
	v_fma_f64 v[24:25], v[6:7], s[8:9], v[49:50]
	v_fma_f64 v[49:50], v[2:3], s[8:9], v[55:56]
	;; [unrolled: 1-line block ×7, first 2 shown]
	v_mul_f64 v[6:7], v[28:29], s[20:21]
	v_mul_f64 v[28:29], v[28:29], s[18:19]
	v_fma_f64 v[117:118], v[105:106], s[4:5], v[117:118]
	v_fma_f64 v[32:33], v[83:84], s[8:9], v[99:100]
	v_mul_f64 v[99:100], v[38:39], s[22:23]
	v_mul_f64 v[38:39], v[38:39], s[16:17]
	;; [unrolled: 1-line block ×4, first 2 shown]
	v_fma_f64 v[46:47], v[83:84], s[8:9], v[46:47]
	v_mul_f64 v[83:84], v[63:64], s[20:21]
	v_mul_f64 v[63:64], v[63:64], s[14:15]
	v_fma_f64 v[75:76], v[105:106], s[20:21], v[75:76]
	v_fma_f64 v[97:98], v[93:94], s[8:9], v[129:130]
	;; [unrolled: 1-line block ×3, first 2 shown]
	v_mul_f64 v[93:94], v[65:66], s[20:21]
	v_mul_f64 v[65:66], v[65:66], s[18:19]
	;; [unrolled: 1-line block ×4, first 2 shown]
	v_fma_f64 v[91:92], v[69:70], s[8:9], v[103:104]
	v_mul_f64 v[103:104], v[0:1], s[22:23]
	v_mul_f64 v[0:1], v[0:1], s[16:17]
	;; [unrolled: 1-line block ×4, first 2 shown]
	v_fma_f64 v[6:7], v[24:25], s[18:19], v[6:7]
	v_fma_f64 v[24:25], v[24:25], s[4:5], v[28:29]
	v_fma_f64 v[95:96], v[71:72], s[8:9], v[117:118]
	v_fma_f64 v[107:108], v[77:78], s[8:9], v[119:120]
	v_fma_f64 v[38:39], v[36:37], s[6:7], v[38:39]
	v_fma_f64 v[28:29], v[55:56], s[8:9], v[53:54]
	v_fma_f64 v[53:54], v[55:56], s[6:7], v[26:27]
	v_fma_f64 v[55:56], v[36:37], s[16:17], v[99:100]
	v_fma_f64 v[99:100], v[69:70], s[8:9], v[73:74]
	v_fma_f64 v[69:70], v[4:5], s[14:15], v[83:84]
	v_fma_f64 v[63:64], v[4:5], s[4:5], v[63:64]
	v_fma_f64 v[113:114], v[71:72], s[8:9], v[75:76]
	v_fma_f64 v[111:112], v[79:80], s[8:9], v[142:143]
	v_fma_f64 v[71:72], v[32:33], s[18:19], v[93:94]
	v_fma_f64 v[65:66], v[32:33], s[4:5], v[65:66]
	v_fma_f64 v[73:74], v[97:98], s[8:9], v[101:102]
	v_fma_f64 v[83:84], v[97:98], s[6:7], v[67:68]
	v_fma_f64 v[87:88], v[77:78], s[8:9], v[87:88]
	v_fma_f64 v[85:86], v[79:80], s[8:9], v[85:86]
	v_fma_f64 v[93:94], v[34:35], s[16:17], v[103:104]
	v_fma_f64 v[97:98], v[34:35], s[6:7], v[0:1]
	v_fma_f64 v[101:102], v[46:47], s[14:15], v[105:106]
	v_fma_f64 v[46:47], v[46:47], s[4:5], v[2:3]
	v_add_f64 v[0:1], v[30:31], v[6:7]
	v_add_f64 v[2:3], v[49:50], v[24:25]
	v_add_f64 v[4:5], v[30:31], -v[6:7]
	v_add_f64 v[6:7], v[49:50], -v[24:25]
	v_add_f64 v[24:25], v[51:52], v[28:29]
	v_add_f64 v[26:27], v[89:90], v[53:54]
	v_add_f64 v[32:33], v[61:62], v[55:56]
	v_add_f64 v[34:35], v[59:60], v[38:39]
	v_add_f64 v[28:29], v[51:52], -v[28:29]
	v_add_f64 v[49:50], v[57:58], v[69:70]
	v_add_f64 v[51:52], v[81:82], v[63:64]
	v_add_f64 v[30:31], v[89:90], -v[53:54]
	v_add_f64 v[36:37], v[61:62], -v[55:56]
	;; [unrolled: 1-line block ×5, first 2 shown]
	v_add_f64 v[57:58], v[91:92], v[71:72]
	v_add_f64 v[59:60], v[95:96], v[65:66]
	v_add_f64 v[63:64], v[95:96], -v[65:66]
	v_add_f64 v[65:66], v[107:108], v[73:74]
	v_add_f64 v[67:68], v[111:112], v[83:84]
	v_add_f64 v[69:70], v[107:108], -v[73:74]
	v_add_f64 v[73:74], v[87:88], v[93:94]
	v_add_f64 v[75:76], v[85:86], v[97:98]
	;; [unrolled: 1-line block ×4, first 2 shown]
	v_add_f64 v[61:62], v[91:92], -v[71:72]
	v_add_f64 v[71:72], v[111:112], -v[83:84]
	;; [unrolled: 1-line block ×6, first 2 shown]
	ds_write_b128 v147, v[8:11]
	ds_write_b128 v147, v[12:15] offset:5120
	ds_write_b128 v147, v[0:3] offset:1024
	;; [unrolled: 1-line block ×9, first 2 shown]
	ds_write_b128 v40, v[16:19]
	ds_write_b128 v40, v[57:60] offset:1024
	ds_write_b128 v40, v[65:68] offset:2048
	;; [unrolled: 1-line block ×9, first 2 shown]
	s_waitcnt lgkmcnt(0)
	s_barrier
	buffer_gl0_inv
	s_clause 0x1
	global_load_dwordx4 v[0:3], v[109:110], off offset:1984
	global_load_dwordx4 v[4:7], v[140:141], off offset:16
	v_add_co_u32 v12, s0, 0x3800, v145
	v_add_co_ci_u32_e64 v13, s0, 0, v146, s0
	v_add_co_u32 v20, s0, 0x3fc0, v145
	v_add_co_ci_u32_e64 v21, s0, 0, v146, s0
	global_load_dwordx4 v[8:11], v[140:141], off offset:32
	v_add_co_u32 v24, s0, 0x5000, v145
	s_clause 0x1
	global_load_dwordx4 v[12:15], v[12:13], off offset:1984
	global_load_dwordx4 v[16:19], v[20:21], off offset:16
	v_add_co_ci_u32_e64 v25, s0, 0, v146, s0
	v_add_co_u32 v46, s0, 0x6fc0, v145
	s_clause 0x1
	global_load_dwordx4 v[20:23], v[20:21], off offset:32
	global_load_dwordx4 v[24:27], v[24:25], off offset:1984
	v_add_co_ci_u32_e64 v47, s0, 0, v146, s0
	v_add_co_u32 v32, s0, 0x57c0, v145
	v_add_co_ci_u32_e64 v33, s0, 0, v146, s0
	v_add_co_u32 v49, s0, 0x6800, v145
	;; [unrolled: 2-line block ×3, first 2 shown]
	v_add_co_ci_u32_e64 v57, null, s13, 0, s0
	s_clause 0x1
	global_load_dwordx4 v[28:31], v[32:33], off offset:16
	global_load_dwordx4 v[32:35], v[32:33], off offset:32
	v_add_co_u32 v65, s0, 0x27c0, v40
	v_add_co_ci_u32_e64 v66, s0, 0, v57, s0
	v_add_co_u32 v61, s0, 0x2000, v40
	v_add_co_ci_u32_e64 v62, s0, 0, v57, s0
	s_clause 0x5
	global_load_dwordx4 v[36:39], v[46:47], off offset:16
	global_load_dwordx4 v[49:52], v[49:50], off offset:1984
	;; [unrolled: 1-line block ×6, first 2 shown]
	ds_read_b128 v[69:72], v139 offset:10240
	ds_read_b128 v[73:76], v139 offset:20480
	ds_read_b128 v[77:80], v139 offset:30720
	ds_read_b128 v[81:84], v139 offset:12288
	ds_read_b128 v[85:88], v139 offset:22528
	ds_read_b128 v[89:92], v139 offset:8192
	ds_read_b128 v[93:96], v139 offset:32768
	ds_read_b128 v[97:100], v139 offset:28672
	ds_read_b128 v[101:104], v139 offset:14336
	ds_read_b128 v[105:108], v139 offset:34816
	ds_read_b128 v[109:112], v139 offset:24576
	ds_read_b128 v[113:116], v139 offset:26624
	s_waitcnt vmcnt(14) lgkmcnt(11)
	v_mul_f64 v[46:47], v[71:72], v[2:3]
	v_mul_f64 v[2:3], v[69:70], v[2:3]
	s_waitcnt vmcnt(13) lgkmcnt(10)
	v_mul_f64 v[117:118], v[75:76], v[6:7]
	v_mul_f64 v[6:7], v[73:74], v[6:7]
	;; [unrolled: 3-line block ×3, first 2 shown]
	s_waitcnt vmcnt(11) lgkmcnt(8)
	v_mul_f64 v[121:122], v[83:84], v[14:15]
	s_waitcnt vmcnt(10) lgkmcnt(7)
	v_mul_f64 v[123:124], v[87:88], v[18:19]
	v_mul_f64 v[14:15], v[81:82], v[14:15]
	;; [unrolled: 1-line block ×3, first 2 shown]
	s_waitcnt vmcnt(9) lgkmcnt(5)
	v_mul_f64 v[127:128], v[95:96], v[22:23]
	s_waitcnt vmcnt(8) lgkmcnt(3)
	v_mul_f64 v[131:132], v[103:104], v[26:27]
	v_mul_f64 v[22:23], v[93:94], v[22:23]
	v_fma_f64 v[46:47], v[69:70], v[0:1], v[46:47]
	v_fma_f64 v[125:126], v[71:72], v[0:1], -v[2:3]
	ds_read_b128 v[0:3], v139 offset:16384
	ds_read_b128 v[69:72], v139 offset:18432
	v_fma_f64 v[117:118], v[73:74], v[4:5], v[117:118]
	v_fma_f64 v[129:130], v[75:76], v[4:5], -v[6:7]
	ds_read_b128 v[4:7], v139 offset:36864
	ds_read_b128 v[73:76], v139 offset:38912
	v_fma_f64 v[77:78], v[77:78], v[8:9], v[119:120]
	v_fma_f64 v[79:80], v[79:80], v[8:9], -v[10:11]
	v_mul_f64 v[8:9], v[101:102], v[26:27]
	s_waitcnt vmcnt(7) lgkmcnt(5)
	v_mul_f64 v[10:11], v[111:112], v[30:31]
	v_mul_f64 v[26:27], v[109:110], v[30:31]
	v_fma_f64 v[85:86], v[85:86], v[16:17], v[123:124]
	s_waitcnt vmcnt(6)
	v_mul_f64 v[30:31], v[107:108], v[34:35]
	v_mul_f64 v[34:35], v[105:106], v[34:35]
	v_fma_f64 v[81:82], v[81:82], v[12:13], v[121:122]
	v_fma_f64 v[93:94], v[93:94], v[20:21], v[127:128]
	s_waitcnt vmcnt(5) lgkmcnt(4)
	v_mul_f64 v[119:120], v[115:116], v[38:39]
	v_mul_f64 v[38:39], v[113:114], v[38:39]
	s_waitcnt vmcnt(3)
	v_mul_f64 v[123:124], v[99:100], v[55:56]
	s_waitcnt lgkmcnt(3)
	v_mul_f64 v[121:122], v[2:3], v[51:52]
	v_mul_f64 v[51:52], v[0:1], v[51:52]
	;; [unrolled: 1-line block ×3, first 2 shown]
	s_waitcnt vmcnt(2) lgkmcnt(1)
	v_mul_f64 v[133:134], v[6:7], v[59:60]
	v_mul_f64 v[59:60], v[4:5], v[59:60]
	s_waitcnt vmcnt(1)
	v_mul_f64 v[127:128], v[71:72], v[63:64]
	v_mul_f64 v[63:64], v[69:70], v[63:64]
	s_waitcnt vmcnt(0) lgkmcnt(0)
	v_mul_f64 v[135:136], v[75:76], v[67:68]
	v_mul_f64 v[67:68], v[73:74], v[67:68]
	v_fma_f64 v[101:102], v[101:102], v[24:25], v[131:132]
	v_fma_f64 v[83:84], v[83:84], v[12:13], -v[14:15]
	v_fma_f64 v[24:25], v[103:104], v[24:25], -v[8:9]
	v_fma_f64 v[103:104], v[109:110], v[28:29], v[10:11]
	v_fma_f64 v[26:27], v[111:112], v[28:29], -v[26:27]
	v_fma_f64 v[87:88], v[87:88], v[16:17], -v[18:19]
	;; [unrolled: 1-line block ×3, first 2 shown]
	ds_read_b128 v[8:11], v139
	ds_read_b128 v[12:15], v139 offset:2048
	ds_read_b128 v[16:19], v139 offset:4096
	;; [unrolled: 1-line block ×3, first 2 shown]
	v_fma_f64 v[30:31], v[105:106], v[32:33], v[30:31]
	v_fma_f64 v[28:29], v[113:114], v[36:37], v[119:120]
	v_fma_f64 v[36:37], v[115:116], v[36:37], -v[38:39]
	v_fma_f64 v[38:39], v[97:98], v[53:54], v[123:124]
	v_fma_f64 v[32:33], v[107:108], v[32:33], -v[34:35]
	;; [unrolled: 2-line block ×3, first 2 shown]
	v_fma_f64 v[2:3], v[2:3], v[49:50], -v[51:52]
	v_fma_f64 v[4:5], v[4:5], v[57:58], v[133:134]
	v_fma_f64 v[6:7], v[6:7], v[57:58], -v[59:60]
	v_fma_f64 v[34:35], v[69:70], v[61:62], v[127:128]
	;; [unrolled: 2-line block ×3, first 2 shown]
	v_fma_f64 v[55:56], v[75:76], v[65:66], -v[67:68]
	s_waitcnt lgkmcnt(0)
	s_barrier
	buffer_gl0_inv
	v_add_f64 v[57:58], v[8:9], -v[117:118]
	v_add_f64 v[59:60], v[10:11], -v[129:130]
	;; [unrolled: 1-line block ×20, first 2 shown]
	v_fma_f64 v[79:80], v[8:9], 2.0, -v[57:58]
	v_fma_f64 v[85:86], v[10:11], 2.0, -v[59:60]
	;; [unrolled: 1-line block ×20, first 2 shown]
	v_add_f64 v[0:1], v[57:58], v[28:29]
	v_add_f64 v[2:3], v[59:60], -v[26:27]
	v_add_f64 v[4:5], v[61:62], v[38:39]
	v_add_f64 v[6:7], v[63:64], -v[36:37]
	;; [unrolled: 2-line block ×5, first 2 shown]
	v_add_f64 v[20:21], v[79:80], -v[20:21]
	v_add_f64 v[22:23], v[85:86], -v[22:23]
	;; [unrolled: 1-line block ×10, first 2 shown]
	v_fma_f64 v[49:50], v[57:58], 2.0, -v[0:1]
	v_fma_f64 v[51:52], v[59:60], 2.0, -v[2:3]
	v_fma_f64 v[53:54], v[61:62], 2.0, -v[4:5]
	v_fma_f64 v[55:56], v[63:64], 2.0, -v[6:7]
	v_fma_f64 v[57:58], v[65:66], 2.0, -v[8:9]
	v_fma_f64 v[59:60], v[67:68], 2.0, -v[10:11]
	v_fma_f64 v[61:62], v[69:70], 2.0, -v[12:13]
	v_fma_f64 v[63:64], v[71:72], 2.0, -v[14:15]
	v_fma_f64 v[65:66], v[73:74], 2.0, -v[16:17]
	v_fma_f64 v[67:68], v[75:76], 2.0, -v[18:19]
	v_fma_f64 v[69:70], v[79:80], 2.0, -v[20:21]
	v_fma_f64 v[71:72], v[85:86], 2.0, -v[22:23]
	v_fma_f64 v[73:74], v[87:88], 2.0, -v[24:25]
	v_fma_f64 v[75:76], v[93:94], 2.0, -v[26:27]
	v_fma_f64 v[77:78], v[95:96], 2.0, -v[28:29]
	v_fma_f64 v[79:80], v[97:98], 2.0, -v[30:31]
	v_fma_f64 v[81:82], v[99:100], 2.0, -v[32:33]
	v_fma_f64 v[83:84], v[103:104], 2.0, -v[34:35]
	v_fma_f64 v[85:86], v[89:90], 2.0, -v[36:37]
	v_fma_f64 v[87:88], v[91:92], 2.0, -v[38:39]
	ds_write_b128 v139, v[0:3] offset:30720
	ds_write_b128 v139, v[4:7] offset:32768
	;; [unrolled: 1-line block ×15, first 2 shown]
	ds_write_b128 v139, v[69:72]
	ds_write_b128 v139, v[73:76] offset:2048
	ds_write_b128 v139, v[77:80] offset:4096
	;; [unrolled: 1-line block ×4, first 2 shown]
	s_waitcnt lgkmcnt(0)
	s_barrier
	buffer_gl0_inv
	s_and_saveexec_b32 s0, vcc_lo
	s_cbranch_execz .LBB0_21
; %bb.20:
	v_mul_lo_u32 v2, s3, v43
	v_mul_lo_u32 v3, s2, v44
	v_mad_u64_u32 v[0:1], null, s2, v43, 0
	v_lshl_add_u32 v26, v45, 4, 0
	v_mov_b32_e32 v46, v48
	v_lshlrev_b64 v[12:13], 4, v[41:42]
	v_add_nc_u32_e32 v47, 0x80, v45
	v_add3_u32 v1, v1, v3, v2
	v_lshlrev_b64 v[14:15], 4, v[45:46]
	v_lshlrev_b64 v[16:17], 4, v[47:48]
	v_add_nc_u32_e32 v47, 0x100, v45
	v_lshlrev_b64 v[8:9], 4, v[0:1]
	ds_read_b128 v[0:3], v26
	ds_read_b128 v[4:7], v26 offset:2048
	v_add_co_u32 v18, vcc_lo, s10, v8
	v_add_co_ci_u32_e32 v19, vcc_lo, s11, v9, vcc_lo
	ds_read_b128 v[8:11], v26 offset:4096
	v_add_co_u32 v30, vcc_lo, v18, v12
	v_add_co_ci_u32_e32 v31, vcc_lo, v19, v13, vcc_lo
	v_lshlrev_b64 v[12:13], 4, v[47:48]
	v_add_co_u32 v14, vcc_lo, v30, v14
	v_add_co_ci_u32_e32 v15, vcc_lo, v31, v15, vcc_lo
	v_add_co_u32 v16, vcc_lo, v30, v16
	v_add_co_ci_u32_e32 v17, vcc_lo, v31, v17, vcc_lo
	v_add_co_u32 v12, vcc_lo, v30, v12
	v_add_nc_u32_e32 v47, 0x180, v45
	v_add_co_ci_u32_e32 v13, vcc_lo, v31, v13, vcc_lo
	s_waitcnt lgkmcnt(2)
	global_store_dwordx4 v[14:15], v[0:3], off
	s_waitcnt lgkmcnt(1)
	global_store_dwordx4 v[16:17], v[4:7], off
	ds_read_b128 v[0:3], v26 offset:6144
	v_lshlrev_b64 v[18:19], 4, v[47:48]
	v_add_nc_u32_e32 v47, 0x200, v45
	s_waitcnt lgkmcnt(1)
	global_store_dwordx4 v[12:13], v[8:11], off
	ds_read_b128 v[4:7], v26 offset:8192
	ds_read_b128 v[8:11], v26 offset:10240
	v_lshlrev_b64 v[12:13], 4, v[47:48]
	v_add_nc_u32_e32 v47, 0x280, v45
	v_add_co_u32 v14, vcc_lo, v30, v18
	v_add_co_ci_u32_e32 v15, vcc_lo, v31, v19, vcc_lo
	v_lshlrev_b64 v[16:17], 4, v[47:48]
	v_add_co_u32 v12, vcc_lo, v30, v12
	v_add_co_ci_u32_e32 v13, vcc_lo, v31, v13, vcc_lo
	v_add_nc_u32_e32 v47, 0x300, v45
	v_add_co_u32 v16, vcc_lo, v30, v16
	v_add_co_ci_u32_e32 v17, vcc_lo, v31, v17, vcc_lo
	s_waitcnt lgkmcnt(2)
	global_store_dwordx4 v[14:15], v[0:3], off
	v_lshlrev_b64 v[14:15], 4, v[47:48]
	v_add_nc_u32_e32 v47, 0x380, v45
	s_waitcnt lgkmcnt(1)
	global_store_dwordx4 v[12:13], v[4:7], off
	s_waitcnt lgkmcnt(0)
	global_store_dwordx4 v[16:17], v[8:11], off
	ds_read_b128 v[0:3], v26 offset:12288
	ds_read_b128 v[4:7], v26 offset:14336
	;; [unrolled: 1-line block ×3, first 2 shown]
	v_lshlrev_b64 v[12:13], 4, v[47:48]
	v_add_nc_u32_e32 v47, 0x400, v45
	v_add_co_u32 v14, vcc_lo, v30, v14
	v_add_co_ci_u32_e32 v15, vcc_lo, v31, v15, vcc_lo
	v_lshlrev_b64 v[16:17], 4, v[47:48]
	v_add_co_u32 v12, vcc_lo, v30, v12
	v_add_co_ci_u32_e32 v13, vcc_lo, v31, v13, vcc_lo
	v_add_nc_u32_e32 v47, 0x480, v45
	v_add_co_u32 v16, vcc_lo, v30, v16
	v_add_co_ci_u32_e32 v17, vcc_lo, v31, v17, vcc_lo
	v_lshlrev_b64 v[18:19], 4, v[47:48]
	v_add_nc_u32_e32 v47, 0x500, v45
	s_waitcnt lgkmcnt(2)
	global_store_dwordx4 v[14:15], v[0:3], off
	s_waitcnt lgkmcnt(1)
	global_store_dwordx4 v[12:13], v[4:7], off
	;; [unrolled: 2-line block ×3, first 2 shown]
	ds_read_b128 v[0:3], v26 offset:18432
	ds_read_b128 v[4:7], v26 offset:20480
	;; [unrolled: 1-line block ×3, first 2 shown]
	v_lshlrev_b64 v[12:13], 4, v[47:48]
	v_add_nc_u32_e32 v47, 0x580, v45
	v_add_co_u32 v14, vcc_lo, v30, v18
	v_add_co_ci_u32_e32 v15, vcc_lo, v31, v19, vcc_lo
	v_lshlrev_b64 v[16:17], 4, v[47:48]
	v_add_co_u32 v12, vcc_lo, v30, v12
	v_add_co_ci_u32_e32 v13, vcc_lo, v31, v13, vcc_lo
	v_add_nc_u32_e32 v47, 0x600, v45
	v_add_co_u32 v16, vcc_lo, v30, v16
	v_add_co_ci_u32_e32 v17, vcc_lo, v31, v17, vcc_lo
	s_waitcnt lgkmcnt(2)
	global_store_dwordx4 v[14:15], v[0:3], off
	s_waitcnt lgkmcnt(1)
	global_store_dwordx4 v[12:13], v[4:7], off
	;; [unrolled: 2-line block ×3, first 2 shown]
	v_lshlrev_b64 v[14:15], 4, v[47:48]
	v_add_nc_u32_e32 v47, 0x680, v45
	ds_read_b128 v[0:3], v26 offset:24576
	ds_read_b128 v[4:7], v26 offset:26624
	;; [unrolled: 1-line block ×3, first 2 shown]
	v_lshlrev_b64 v[12:13], 4, v[47:48]
	v_add_nc_u32_e32 v47, 0x700, v45
	v_add_co_u32 v14, vcc_lo, v30, v14
	v_add_co_ci_u32_e32 v15, vcc_lo, v31, v15, vcc_lo
	v_lshlrev_b64 v[16:17], 4, v[47:48]
	v_add_nc_u32_e32 v47, 0x780, v45
	v_add_co_u32 v12, vcc_lo, v30, v12
	v_add_co_ci_u32_e32 v13, vcc_lo, v31, v13, vcc_lo
	v_lshlrev_b64 v[18:19], 4, v[47:48]
	v_add_nc_u32_e32 v47, 0x800, v45
	v_add_co_u32 v16, vcc_lo, v30, v16
	s_waitcnt lgkmcnt(2)
	global_store_dwordx4 v[14:15], v[0:3], off
	s_waitcnt lgkmcnt(1)
	global_store_dwordx4 v[12:13], v[4:7], off
	v_add_co_ci_u32_e32 v17, vcc_lo, v31, v17, vcc_lo
	v_lshlrev_b64 v[4:5], 4, v[47:48]
	v_add_co_u32 v20, vcc_lo, v30, v18
	v_add_nc_u32_e32 v47, 0x880, v45
	v_add_co_ci_u32_e32 v21, vcc_lo, v31, v19, vcc_lo
	v_add_co_u32 v22, vcc_lo, v30, v4
	s_waitcnt lgkmcnt(0)
	global_store_dwordx4 v[16:17], v[8:11], off
	ds_read_b128 v[0:3], v26 offset:30720
	v_add_co_ci_u32_e32 v23, vcc_lo, v31, v5, vcc_lo
	ds_read_b128 v[4:7], v26 offset:32768
	ds_read_b128 v[8:11], v26 offset:34816
	;; [unrolled: 1-line block ×4, first 2 shown]
	v_lshlrev_b64 v[24:25], 4, v[47:48]
	v_add_nc_u32_e32 v47, 0x900, v45
	v_lshlrev_b64 v[26:27], 4, v[47:48]
	v_add_nc_u32_e32 v47, 0x980, v45
	v_add_co_u32 v24, vcc_lo, v30, v24
	v_add_co_ci_u32_e32 v25, vcc_lo, v31, v25, vcc_lo
	v_lshlrev_b64 v[28:29], 4, v[47:48]
	v_add_co_u32 v26, vcc_lo, v30, v26
	v_add_co_ci_u32_e32 v27, vcc_lo, v31, v27, vcc_lo
	v_add_co_u32 v28, vcc_lo, v30, v28
	v_add_co_ci_u32_e32 v29, vcc_lo, v31, v29, vcc_lo
	s_waitcnt lgkmcnt(4)
	global_store_dwordx4 v[20:21], v[0:3], off
	s_waitcnt lgkmcnt(3)
	global_store_dwordx4 v[22:23], v[4:7], off
	;; [unrolled: 2-line block ×5, first 2 shown]
.LBB0_21:
	s_endpgm
	.section	.rodata,"a",@progbits
	.p2align	6, 0x0
	.amdhsa_kernel fft_rtc_back_len2560_factors_4_4_4_10_4_wgs_128_tpt_128_halfLds_dp_op_CI_CI_unitstride_sbrr_C2R_dirReg
		.amdhsa_group_segment_fixed_size 0
		.amdhsa_private_segment_fixed_size 0
		.amdhsa_kernarg_size 104
		.amdhsa_user_sgpr_count 6
		.amdhsa_user_sgpr_private_segment_buffer 1
		.amdhsa_user_sgpr_dispatch_ptr 0
		.amdhsa_user_sgpr_queue_ptr 0
		.amdhsa_user_sgpr_kernarg_segment_ptr 1
		.amdhsa_user_sgpr_dispatch_id 0
		.amdhsa_user_sgpr_flat_scratch_init 0
		.amdhsa_user_sgpr_private_segment_size 0
		.amdhsa_wavefront_size32 1
		.amdhsa_uses_dynamic_stack 0
		.amdhsa_system_sgpr_private_segment_wavefront_offset 0
		.amdhsa_system_sgpr_workgroup_id_x 1
		.amdhsa_system_sgpr_workgroup_id_y 0
		.amdhsa_system_sgpr_workgroup_id_z 0
		.amdhsa_system_sgpr_workgroup_info 0
		.amdhsa_system_vgpr_workitem_id 0
		.amdhsa_next_free_vgpr 158
		.amdhsa_next_free_sgpr 27
		.amdhsa_reserve_vcc 1
		.amdhsa_reserve_flat_scratch 0
		.amdhsa_float_round_mode_32 0
		.amdhsa_float_round_mode_16_64 0
		.amdhsa_float_denorm_mode_32 3
		.amdhsa_float_denorm_mode_16_64 3
		.amdhsa_dx10_clamp 1
		.amdhsa_ieee_mode 1
		.amdhsa_fp16_overflow 0
		.amdhsa_workgroup_processor_mode 1
		.amdhsa_memory_ordered 1
		.amdhsa_forward_progress 0
		.amdhsa_shared_vgpr_count 0
		.amdhsa_exception_fp_ieee_invalid_op 0
		.amdhsa_exception_fp_denorm_src 0
		.amdhsa_exception_fp_ieee_div_zero 0
		.amdhsa_exception_fp_ieee_overflow 0
		.amdhsa_exception_fp_ieee_underflow 0
		.amdhsa_exception_fp_ieee_inexact 0
		.amdhsa_exception_int_div_zero 0
	.end_amdhsa_kernel
	.text
.Lfunc_end0:
	.size	fft_rtc_back_len2560_factors_4_4_4_10_4_wgs_128_tpt_128_halfLds_dp_op_CI_CI_unitstride_sbrr_C2R_dirReg, .Lfunc_end0-fft_rtc_back_len2560_factors_4_4_4_10_4_wgs_128_tpt_128_halfLds_dp_op_CI_CI_unitstride_sbrr_C2R_dirReg
                                        ; -- End function
	.section	.AMDGPU.csdata,"",@progbits
; Kernel info:
; codeLenInByte = 15176
; NumSgprs: 29
; NumVgprs: 158
; ScratchSize: 0
; MemoryBound: 0
; FloatMode: 240
; IeeeMode: 1
; LDSByteSize: 0 bytes/workgroup (compile time only)
; SGPRBlocks: 3
; VGPRBlocks: 19
; NumSGPRsForWavesPerEU: 29
; NumVGPRsForWavesPerEU: 158
; Occupancy: 6
; WaveLimiterHint : 1
; COMPUTE_PGM_RSRC2:SCRATCH_EN: 0
; COMPUTE_PGM_RSRC2:USER_SGPR: 6
; COMPUTE_PGM_RSRC2:TRAP_HANDLER: 0
; COMPUTE_PGM_RSRC2:TGID_X_EN: 1
; COMPUTE_PGM_RSRC2:TGID_Y_EN: 0
; COMPUTE_PGM_RSRC2:TGID_Z_EN: 0
; COMPUTE_PGM_RSRC2:TIDIG_COMP_CNT: 0
	.text
	.p2alignl 6, 3214868480
	.fill 48, 4, 3214868480
	.type	__hip_cuid_e6695a18b2ac6d5a,@object ; @__hip_cuid_e6695a18b2ac6d5a
	.section	.bss,"aw",@nobits
	.globl	__hip_cuid_e6695a18b2ac6d5a
__hip_cuid_e6695a18b2ac6d5a:
	.byte	0                               ; 0x0
	.size	__hip_cuid_e6695a18b2ac6d5a, 1

	.ident	"AMD clang version 19.0.0git (https://github.com/RadeonOpenCompute/llvm-project roc-6.4.0 25133 c7fe45cf4b819c5991fe208aaa96edf142730f1d)"
	.section	".note.GNU-stack","",@progbits
	.addrsig
	.addrsig_sym __hip_cuid_e6695a18b2ac6d5a
	.amdgpu_metadata
---
amdhsa.kernels:
  - .args:
      - .actual_access:  read_only
        .address_space:  global
        .offset:         0
        .size:           8
        .value_kind:     global_buffer
      - .offset:         8
        .size:           8
        .value_kind:     by_value
      - .actual_access:  read_only
        .address_space:  global
        .offset:         16
        .size:           8
        .value_kind:     global_buffer
      - .actual_access:  read_only
        .address_space:  global
        .offset:         24
        .size:           8
        .value_kind:     global_buffer
      - .actual_access:  read_only
        .address_space:  global
        .offset:         32
        .size:           8
        .value_kind:     global_buffer
      - .offset:         40
        .size:           8
        .value_kind:     by_value
      - .actual_access:  read_only
        .address_space:  global
        .offset:         48
        .size:           8
        .value_kind:     global_buffer
      - .actual_access:  read_only
        .address_space:  global
        .offset:         56
        .size:           8
        .value_kind:     global_buffer
      - .offset:         64
        .size:           4
        .value_kind:     by_value
      - .actual_access:  read_only
        .address_space:  global
        .offset:         72
        .size:           8
        .value_kind:     global_buffer
      - .actual_access:  read_only
        .address_space:  global
        .offset:         80
        .size:           8
        .value_kind:     global_buffer
      - .actual_access:  read_only
        .address_space:  global
        .offset:         88
        .size:           8
        .value_kind:     global_buffer
      - .actual_access:  write_only
        .address_space:  global
        .offset:         96
        .size:           8
        .value_kind:     global_buffer
    .group_segment_fixed_size: 0
    .kernarg_segment_align: 8
    .kernarg_segment_size: 104
    .language:       OpenCL C
    .language_version:
      - 2
      - 0
    .max_flat_workgroup_size: 128
    .name:           fft_rtc_back_len2560_factors_4_4_4_10_4_wgs_128_tpt_128_halfLds_dp_op_CI_CI_unitstride_sbrr_C2R_dirReg
    .private_segment_fixed_size: 0
    .sgpr_count:     29
    .sgpr_spill_count: 0
    .symbol:         fft_rtc_back_len2560_factors_4_4_4_10_4_wgs_128_tpt_128_halfLds_dp_op_CI_CI_unitstride_sbrr_C2R_dirReg.kd
    .uniform_work_group_size: 1
    .uses_dynamic_stack: false
    .vgpr_count:     158
    .vgpr_spill_count: 0
    .wavefront_size: 32
    .workgroup_processor_mode: 1
amdhsa.target:   amdgcn-amd-amdhsa--gfx1030
amdhsa.version:
  - 1
  - 2
...

	.end_amdgpu_metadata
